;; amdgpu-corpus repo=ROCm/rocFFT kind=compiled arch=gfx906 opt=O3
	.text
	.amdgcn_target "amdgcn-amd-amdhsa--gfx906"
	.amdhsa_code_object_version 6
	.protected	fft_rtc_fwd_len1701_factors_3_3_3_3_3_7_wgs_63_tpt_63_halfLds_sp_ip_CI_sbrr_dirReg ; -- Begin function fft_rtc_fwd_len1701_factors_3_3_3_3_3_7_wgs_63_tpt_63_halfLds_sp_ip_CI_sbrr_dirReg
	.globl	fft_rtc_fwd_len1701_factors_3_3_3_3_3_7_wgs_63_tpt_63_halfLds_sp_ip_CI_sbrr_dirReg
	.p2align	8
	.type	fft_rtc_fwd_len1701_factors_3_3_3_3_3_7_wgs_63_tpt_63_halfLds_sp_ip_CI_sbrr_dirReg,@function
fft_rtc_fwd_len1701_factors_3_3_3_3_3_7_wgs_63_tpt_63_halfLds_sp_ip_CI_sbrr_dirReg: ; @fft_rtc_fwd_len1701_factors_3_3_3_3_3_7_wgs_63_tpt_63_halfLds_sp_ip_CI_sbrr_dirReg
; %bb.0:
	s_load_dwordx2 s[14:15], s[4:5], 0x18
	s_load_dwordx4 s[8:11], s[4:5], 0x0
	s_load_dwordx2 s[12:13], s[4:5], 0x50
	v_mul_u32_u24_e32 v1, 0x411, v0
	v_add_u32_sdwa v5, s6, v1 dst_sel:DWORD dst_unused:UNUSED_PAD src0_sel:DWORD src1_sel:WORD_1
	s_waitcnt lgkmcnt(0)
	s_load_dwordx2 s[2:3], s[14:15], 0x0
	v_cmp_lt_u64_e64 s[0:1], s[10:11], 2
	v_mov_b32_e32 v3, 0
	v_mov_b32_e32 v1, 0
	;; [unrolled: 1-line block ×3, first 2 shown]
	s_and_b64 vcc, exec, s[0:1]
	v_mov_b32_e32 v2, 0
	s_cbranch_vccnz .LBB0_8
; %bb.1:
	s_load_dwordx2 s[0:1], s[4:5], 0x10
	s_add_u32 s6, s14, 8
	s_addc_u32 s7, s15, 0
	v_mov_b32_e32 v1, 0
	v_mov_b32_e32 v2, 0
	s_waitcnt lgkmcnt(0)
	s_add_u32 s16, s0, 8
	s_addc_u32 s17, s1, 0
	s_mov_b64 s[18:19], 1
.LBB0_2:                                ; =>This Inner Loop Header: Depth=1
	s_load_dwordx2 s[20:21], s[16:17], 0x0
                                        ; implicit-def: $vgpr7_vgpr8
	s_waitcnt lgkmcnt(0)
	v_or_b32_e32 v4, s21, v6
	v_cmp_ne_u64_e32 vcc, 0, v[3:4]
	s_and_saveexec_b64 s[0:1], vcc
	s_xor_b64 s[22:23], exec, s[0:1]
	s_cbranch_execz .LBB0_4
; %bb.3:                                ;   in Loop: Header=BB0_2 Depth=1
	v_cvt_f32_u32_e32 v4, s20
	v_cvt_f32_u32_e32 v7, s21
	s_sub_u32 s0, 0, s20
	s_subb_u32 s1, 0, s21
	v_mac_f32_e32 v4, 0x4f800000, v7
	v_rcp_f32_e32 v4, v4
	v_mul_f32_e32 v4, 0x5f7ffffc, v4
	v_mul_f32_e32 v7, 0x2f800000, v4
	v_trunc_f32_e32 v7, v7
	v_mac_f32_e32 v4, 0xcf800000, v7
	v_cvt_u32_f32_e32 v7, v7
	v_cvt_u32_f32_e32 v4, v4
	v_mul_lo_u32 v8, s0, v7
	v_mul_hi_u32 v9, s0, v4
	v_mul_lo_u32 v11, s1, v4
	v_mul_lo_u32 v10, s0, v4
	v_add_u32_e32 v8, v9, v8
	v_add_u32_e32 v8, v8, v11
	v_mul_hi_u32 v9, v4, v10
	v_mul_lo_u32 v11, v4, v8
	v_mul_hi_u32 v13, v4, v8
	v_mul_hi_u32 v12, v7, v10
	v_mul_lo_u32 v10, v7, v10
	v_mul_hi_u32 v14, v7, v8
	v_add_co_u32_e32 v9, vcc, v9, v11
	v_addc_co_u32_e32 v11, vcc, 0, v13, vcc
	v_mul_lo_u32 v8, v7, v8
	v_add_co_u32_e32 v9, vcc, v9, v10
	v_addc_co_u32_e32 v9, vcc, v11, v12, vcc
	v_addc_co_u32_e32 v10, vcc, 0, v14, vcc
	v_add_co_u32_e32 v8, vcc, v9, v8
	v_addc_co_u32_e32 v9, vcc, 0, v10, vcc
	v_add_co_u32_e32 v4, vcc, v4, v8
	v_addc_co_u32_e32 v7, vcc, v7, v9, vcc
	v_mul_lo_u32 v8, s0, v7
	v_mul_hi_u32 v9, s0, v4
	v_mul_lo_u32 v10, s1, v4
	v_mul_lo_u32 v11, s0, v4
	v_add_u32_e32 v8, v9, v8
	v_add_u32_e32 v8, v8, v10
	v_mul_lo_u32 v12, v4, v8
	v_mul_hi_u32 v13, v4, v11
	v_mul_hi_u32 v14, v4, v8
	;; [unrolled: 1-line block ×3, first 2 shown]
	v_mul_lo_u32 v11, v7, v11
	v_mul_hi_u32 v9, v7, v8
	v_add_co_u32_e32 v12, vcc, v13, v12
	v_addc_co_u32_e32 v13, vcc, 0, v14, vcc
	v_mul_lo_u32 v8, v7, v8
	v_add_co_u32_e32 v11, vcc, v12, v11
	v_addc_co_u32_e32 v10, vcc, v13, v10, vcc
	v_addc_co_u32_e32 v9, vcc, 0, v9, vcc
	v_add_co_u32_e32 v8, vcc, v10, v8
	v_addc_co_u32_e32 v9, vcc, 0, v9, vcc
	v_add_co_u32_e32 v4, vcc, v4, v8
	v_addc_co_u32_e32 v9, vcc, v7, v9, vcc
	v_mad_u64_u32 v[7:8], s[0:1], v5, v9, 0
	v_mul_hi_u32 v10, v5, v4
	v_add_co_u32_e32 v11, vcc, v10, v7
	v_addc_co_u32_e32 v12, vcc, 0, v8, vcc
	v_mad_u64_u32 v[7:8], s[0:1], v6, v4, 0
	v_mad_u64_u32 v[9:10], s[0:1], v6, v9, 0
	v_add_co_u32_e32 v4, vcc, v11, v7
	v_addc_co_u32_e32 v4, vcc, v12, v8, vcc
	v_addc_co_u32_e32 v7, vcc, 0, v10, vcc
	v_add_co_u32_e32 v4, vcc, v4, v9
	v_addc_co_u32_e32 v9, vcc, 0, v7, vcc
	v_mul_lo_u32 v10, s21, v4
	v_mul_lo_u32 v11, s20, v9
	v_mad_u64_u32 v[7:8], s[0:1], s20, v4, 0
	v_add3_u32 v8, v8, v11, v10
	v_sub_u32_e32 v10, v6, v8
	v_mov_b32_e32 v11, s21
	v_sub_co_u32_e32 v7, vcc, v5, v7
	v_subb_co_u32_e64 v10, s[0:1], v10, v11, vcc
	v_subrev_co_u32_e64 v11, s[0:1], s20, v7
	v_subbrev_co_u32_e64 v10, s[0:1], 0, v10, s[0:1]
	v_cmp_le_u32_e64 s[0:1], s21, v10
	v_cndmask_b32_e64 v12, 0, -1, s[0:1]
	v_cmp_le_u32_e64 s[0:1], s20, v11
	v_cndmask_b32_e64 v11, 0, -1, s[0:1]
	v_cmp_eq_u32_e64 s[0:1], s21, v10
	v_cndmask_b32_e64 v10, v12, v11, s[0:1]
	v_add_co_u32_e64 v11, s[0:1], 2, v4
	v_addc_co_u32_e64 v12, s[0:1], 0, v9, s[0:1]
	v_add_co_u32_e64 v13, s[0:1], 1, v4
	v_addc_co_u32_e64 v14, s[0:1], 0, v9, s[0:1]
	v_subb_co_u32_e32 v8, vcc, v6, v8, vcc
	v_cmp_ne_u32_e64 s[0:1], 0, v10
	v_cmp_le_u32_e32 vcc, s21, v8
	v_cndmask_b32_e64 v10, v14, v12, s[0:1]
	v_cndmask_b32_e64 v12, 0, -1, vcc
	v_cmp_le_u32_e32 vcc, s20, v7
	v_cndmask_b32_e64 v7, 0, -1, vcc
	v_cmp_eq_u32_e32 vcc, s21, v8
	v_cndmask_b32_e32 v7, v12, v7, vcc
	v_cmp_ne_u32_e32 vcc, 0, v7
	v_cndmask_b32_e64 v7, v13, v11, s[0:1]
	v_cndmask_b32_e32 v8, v9, v10, vcc
	v_cndmask_b32_e32 v7, v4, v7, vcc
.LBB0_4:                                ;   in Loop: Header=BB0_2 Depth=1
	s_andn2_saveexec_b64 s[0:1], s[22:23]
	s_cbranch_execz .LBB0_6
; %bb.5:                                ;   in Loop: Header=BB0_2 Depth=1
	v_cvt_f32_u32_e32 v4, s20
	s_sub_i32 s22, 0, s20
	v_rcp_iflag_f32_e32 v4, v4
	v_mul_f32_e32 v4, 0x4f7ffffe, v4
	v_cvt_u32_f32_e32 v4, v4
	v_mul_lo_u32 v7, s22, v4
	v_mul_hi_u32 v7, v4, v7
	v_add_u32_e32 v4, v4, v7
	v_mul_hi_u32 v4, v5, v4
	v_mul_lo_u32 v7, v4, s20
	v_add_u32_e32 v8, 1, v4
	v_sub_u32_e32 v7, v5, v7
	v_subrev_u32_e32 v9, s20, v7
	v_cmp_le_u32_e32 vcc, s20, v7
	v_cndmask_b32_e32 v7, v7, v9, vcc
	v_cndmask_b32_e32 v4, v4, v8, vcc
	v_add_u32_e32 v8, 1, v4
	v_cmp_le_u32_e32 vcc, s20, v7
	v_cndmask_b32_e32 v7, v4, v8, vcc
	v_mov_b32_e32 v8, v3
.LBB0_6:                                ;   in Loop: Header=BB0_2 Depth=1
	s_or_b64 exec, exec, s[0:1]
	v_mul_lo_u32 v4, v8, s20
	v_mul_lo_u32 v11, v7, s21
	v_mad_u64_u32 v[9:10], s[0:1], v7, s20, 0
	s_load_dwordx2 s[0:1], s[6:7], 0x0
	s_add_u32 s18, s18, 1
	v_add3_u32 v4, v10, v11, v4
	v_sub_co_u32_e32 v5, vcc, v5, v9
	v_subb_co_u32_e32 v4, vcc, v6, v4, vcc
	s_waitcnt lgkmcnt(0)
	v_mul_lo_u32 v4, s0, v4
	v_mul_lo_u32 v6, s1, v5
	v_mad_u64_u32 v[1:2], s[0:1], s0, v5, v[1:2]
	s_addc_u32 s19, s19, 0
	s_add_u32 s6, s6, 8
	v_add3_u32 v2, v6, v2, v4
	v_mov_b32_e32 v4, s10
	v_mov_b32_e32 v5, s11
	s_addc_u32 s7, s7, 0
	v_cmp_ge_u64_e32 vcc, s[18:19], v[4:5]
	s_add_u32 s16, s16, 8
	s_addc_u32 s17, s17, 0
	s_cbranch_vccnz .LBB0_9
; %bb.7:                                ;   in Loop: Header=BB0_2 Depth=1
	v_mov_b32_e32 v5, v7
	v_mov_b32_e32 v6, v8
	s_branch .LBB0_2
.LBB0_8:
	v_mov_b32_e32 v8, v6
	v_mov_b32_e32 v7, v5
.LBB0_9:
	s_lshl_b64 s[0:1], s[10:11], 3
	s_add_u32 s0, s14, s0
	s_addc_u32 s1, s15, s1
	s_load_dwordx2 s[6:7], s[0:1], 0x0
	s_load_dwordx2 s[10:11], s[4:5], 0x20
                                        ; implicit-def: $vgpr70
                                        ; implicit-def: $vgpr69
                                        ; implicit-def: $vgpr67
                                        ; implicit-def: $vgpr56
                                        ; implicit-def: $vgpr57
                                        ; implicit-def: $vgpr58
                                        ; implicit-def: $vgpr59
                                        ; implicit-def: $vgpr60
	s_waitcnt lgkmcnt(0)
	v_mad_u64_u32 v[1:2], s[0:1], s6, v7, v[1:2]
	s_mov_b32 s0, 0x4104105
	v_mul_lo_u32 v3, s6, v8
	v_mul_lo_u32 v4, s7, v7
	v_mul_hi_u32 v5, v0, s0
	v_cmp_gt_u64_e32 vcc, s[10:11], v[7:8]
	v_cmp_le_u64_e64 s[0:1], s[10:11], v[7:8]
	v_add3_u32 v2, v4, v2, v3
	v_mul_u32_u24_e32 v3, 63, v5
	v_sub_u32_e32 v66, v0, v3
	v_add_u32_e32 v68, 63, v66
	s_and_saveexec_b64 s[4:5], s[0:1]
	s_xor_b64 s[0:1], exec, s[4:5]
; %bb.10:
	v_add_u32_e32 v70, 63, v66
	v_add_u32_e32 v69, 0x7e, v66
	v_add_u32_e32 v67, 0xbd, v66
	v_add_u32_e32 v56, 0xfc, v66
	v_add_u32_e32 v57, 0x13b, v66
	v_add_u32_e32 v58, 0x17a, v66
	v_add_u32_e32 v59, 0x1b9, v66
	v_add_u32_e32 v60, 0x1f8, v66
; %bb.11:
	s_or_saveexec_b64 s[4:5], s[0:1]
	v_lshlrev_b64 v[0:1], 3, v[1:2]
                                        ; implicit-def: $vgpr19
                                        ; implicit-def: $vgpr53
                                        ; implicit-def: $vgpr55
                                        ; implicit-def: $vgpr21
                                        ; implicit-def: $vgpr23
                                        ; implicit-def: $vgpr25
                                        ; implicit-def: $vgpr13
                                        ; implicit-def: $vgpr27
                                        ; implicit-def: $vgpr29
                                        ; implicit-def: $vgpr9
                                        ; implicit-def: $vgpr35
                                        ; implicit-def: $vgpr3
                                        ; implicit-def: $vgpr5
                                        ; implicit-def: $vgpr37
                                        ; implicit-def: $vgpr39
                                        ; implicit-def: $vgpr41
                                        ; implicit-def: $vgpr45
                                        ; implicit-def: $vgpr7
                                        ; implicit-def: $vgpr47
                                        ; implicit-def: $vgpr49
                                        ; implicit-def: $vgpr51
                                        ; implicit-def: $vgpr31
                                        ; implicit-def: $vgpr11
                                        ; implicit-def: $vgpr33
                                        ; implicit-def: $vgpr15
                                        ; implicit-def: $vgpr43
                                        ; implicit-def: $vgpr17
	s_xor_b64 exec, exec, s[4:5]
	s_cbranch_execz .LBB0_13
; %bb.12:
	v_mad_u64_u32 v[2:3], s[0:1], s2, v66, 0
	v_add_u32_e32 v7, 0x237, v66
	v_mov_b32_e32 v6, s13
	v_mad_u64_u32 v[3:4], s[0:1], s3, v66, v[3:4]
	v_mad_u64_u32 v[4:5], s[0:1], s2, v7, 0
	v_add_co_u32_e64 v18, s[0:1], s12, v0
	v_addc_co_u32_e64 v19, s[0:1], v6, v1, s[0:1]
	v_mad_u64_u32 v[5:6], s[0:1], s3, v7, v[5:6]
	v_add_u32_e32 v8, 0x46e, v66
	v_mad_u64_u32 v[6:7], s[0:1], s2, v8, 0
	v_lshlrev_b64 v[2:3], 3, v[2:3]
	v_lshlrev_b64 v[4:5], 3, v[4:5]
	v_add_co_u32_e64 v2, s[0:1], v18, v2
	v_addc_co_u32_e64 v3, s[0:1], v19, v3, s[0:1]
	v_mad_u64_u32 v[7:8], s[0:1], s3, v8, v[7:8]
	v_mad_u64_u32 v[8:9], s[0:1], s2, v68, 0
	v_add_co_u32_e64 v4, s[0:1], v18, v4
	v_addc_co_u32_e64 v5, s[0:1], v19, v5, s[0:1]
	v_mad_u64_u32 v[9:10], s[0:1], s3, v68, v[9:10]
	v_add_u32_e32 v12, 0x276, v66
	v_mad_u64_u32 v[10:11], s[0:1], s2, v12, 0
	v_lshlrev_b64 v[6:7], 3, v[6:7]
	v_add_u32_e32 v14, 0x4ad, v66
	v_add_co_u32_e64 v6, s[0:1], v18, v6
	v_addc_co_u32_e64 v7, s[0:1], v19, v7, s[0:1]
	v_mad_u64_u32 v[11:12], s[0:1], s3, v12, v[11:12]
	v_mad_u64_u32 v[12:13], s[0:1], s2, v14, 0
	v_lshlrev_b64 v[8:9], 3, v[8:9]
	v_add_u32_e32 v69, 0x7e, v66
	v_add_co_u32_e64 v8, s[0:1], v18, v8
	v_addc_co_u32_e64 v9, s[0:1], v19, v9, s[0:1]
	v_mad_u64_u32 v[13:14], s[0:1], s3, v14, v[13:14]
	v_mad_u64_u32 v[14:15], s[0:1], s2, v69, 0
	v_lshlrev_b64 v[10:11], 3, v[10:11]
	v_add_u32_e32 v67, 0xbd, v66
	v_add_co_u32_e64 v34, s[0:1], v18, v10
	v_addc_co_u32_e64 v35, s[0:1], v19, v11, s[0:1]
	v_lshlrev_b64 v[10:11], 3, v[12:13]
	v_mov_b32_e32 v12, v15
	v_mad_u64_u32 v[12:13], s[0:1], s3, v69, v[12:13]
	v_add_u32_e32 v13, 0x2b5, v66
	v_mad_u64_u32 v[16:17], s[0:1], s2, v13, 0
	v_add_co_u32_e64 v36, s[0:1], v18, v10
	v_mov_b32_e32 v15, v12
	v_mov_b32_e32 v12, v17
	v_addc_co_u32_e64 v37, s[0:1], v19, v11, s[0:1]
	v_lshlrev_b64 v[10:11], 3, v[14:15]
	v_mad_u64_u32 v[12:13], s[0:1], s3, v13, v[12:13]
	v_add_u32_e32 v15, 0x4ec, v66
	v_mad_u64_u32 v[13:14], s[0:1], s2, v15, 0
	v_add_co_u32_e64 v38, s[0:1], v18, v10
	v_mov_b32_e32 v17, v12
	v_mov_b32_e32 v12, v14
	v_addc_co_u32_e64 v39, s[0:1], v19, v11, s[0:1]
	v_mad_u64_u32 v[14:15], s[0:1], s3, v15, v[12:13]
	v_lshlrev_b64 v[10:11], 3, v[16:17]
	v_mad_u64_u32 v[15:16], s[0:1], s2, v67, 0
	v_add_co_u32_e64 v40, s[0:1], v18, v10
	v_mov_b32_e32 v12, v16
	v_addc_co_u32_e64 v41, s[0:1], v19, v11, s[0:1]
	v_lshlrev_b64 v[10:11], 3, v[13:14]
	v_mad_u64_u32 v[12:13], s[0:1], s3, v67, v[12:13]
	v_add_u32_e32 v17, 0x2f4, v66
	v_mad_u64_u32 v[13:14], s[0:1], s2, v17, 0
	v_add_co_u32_e64 v44, s[0:1], v18, v10
	v_mov_b32_e32 v16, v12
	v_mov_b32_e32 v12, v14
	v_addc_co_u32_e64 v45, s[0:1], v19, v11, s[0:1]
	v_lshlrev_b64 v[10:11], 3, v[15:16]
	v_mad_u64_u32 v[14:15], s[0:1], s3, v17, v[12:13]
	v_add_u32_e32 v17, 0x52b, v66
	v_mad_u64_u32 v[15:16], s[0:1], s2, v17, 0
	v_add_co_u32_e64 v46, s[0:1], v18, v10
	v_mov_b32_e32 v12, v16
	v_addc_co_u32_e64 v47, s[0:1], v19, v11, s[0:1]
	v_lshlrev_b64 v[10:11], 3, v[13:14]
	v_mad_u64_u32 v[12:13], s[0:1], s3, v17, v[12:13]
	v_add_u32_e32 v56, 0xfc, v66
	v_mad_u64_u32 v[13:14], s[0:1], s2, v56, 0
	v_add_co_u32_e64 v48, s[0:1], v18, v10
	v_mov_b32_e32 v16, v12
	v_mov_b32_e32 v12, v14
	v_addc_co_u32_e64 v49, s[0:1], v19, v11, s[0:1]
	v_lshlrev_b64 v[10:11], 3, v[15:16]
	v_mad_u64_u32 v[14:15], s[0:1], s3, v56, v[12:13]
	v_add_u32_e32 v17, 0x333, v66
	;; [unrolled: 15-line block ×8, first 2 shown]
	v_mad_u64_u32 v[15:16], s[0:1], s2, v17, 0
	v_add_co_u32_e64 v88, s[0:1], v18, v10
	v_mov_b32_e32 v12, v16
	v_addc_co_u32_e64 v89, s[0:1], v19, v11, s[0:1]
	v_lshlrev_b64 v[10:11], 3, v[13:14]
	v_mad_u64_u32 v[12:13], s[0:1], s3, v17, v[12:13]
	v_add_u32_e32 v17, 0x666, v66
	v_mad_u64_u32 v[13:14], s[0:1], s2, v17, 0
	v_add_co_u32_e64 v90, s[0:1], v18, v10
	v_mov_b32_e32 v16, v12
	v_mov_b32_e32 v12, v14
	v_addc_co_u32_e64 v91, s[0:1], v19, v11, s[0:1]
	v_lshlrev_b64 v[10:11], 3, v[15:16]
	v_mad_u64_u32 v[14:15], s[0:1], s3, v17, v[12:13]
	v_add_co_u32_e64 v92, s[0:1], v18, v10
	v_addc_co_u32_e64 v93, s[0:1], v19, v11, s[0:1]
	v_lshlrev_b64 v[10:11], 3, v[13:14]
	v_add_co_u32_e64 v94, s[0:1], v18, v10
	v_addc_co_u32_e64 v95, s[0:1], v19, v11, s[0:1]
	global_load_dwordx2 v[18:19], v[2:3], off
	global_load_dwordx2 v[52:53], v[4:5], off
	;; [unrolled: 1-line block ×15, first 2 shown]
                                        ; kill: killed $vgpr2 killed $vgpr3
                                        ; kill: killed $vgpr63 killed $vgpr64
                                        ; kill: killed $vgpr46 killed $vgpr47
                                        ; kill: killed $vgpr6 killed $vgpr7
                                        ; kill: killed $vgpr50 killed $vgpr51
                                        ; kill: killed $vgpr40 killed $vgpr41
                                        ; kill: killed $vgpr8 killed $vgpr9
                                        ; kill: killed $vgpr61 killed $vgpr62
                                        ; kill: killed $vgpr36 killed $vgpr37
                                        ; kill: killed $vgpr4 killed $vgpr5
                                        ; kill: killed $vgpr70 killed $vgpr71
                                        ; kill: killed $vgpr48 killed $vgpr49
                                        ; kill: killed $vgpr38 killed $vgpr39
                                        ; kill: killed $vgpr44 killed $vgpr45
                                        ; kill: killed $vgpr34 killed $vgpr35
	global_load_dwordx2 v[8:9], v[72:73], off
	global_load_dwordx2 v[34:35], v[74:75], off
	global_load_dwordx2 v[50:51], v[76:77], off
	global_load_dwordx2 v[2:3], v[78:79], off
	global_load_dwordx2 v[48:49], v[80:81], off
	global_load_dwordx2 v[46:47], v[82:83], off
	global_load_dwordx2 v[4:5], v[84:85], off
	global_load_dwordx2 v[36:37], v[86:87], off
	global_load_dwordx2 v[38:39], v[88:89], off
	global_load_dwordx2 v[6:7], v[90:91], off
	global_load_dwordx2 v[40:41], v[92:93], off
	global_load_dwordx2 v[44:45], v[94:95], off
	v_mov_b32_e32 v70, v68
.LBB0_13:
	s_or_b64 exec, exec, s[4:5]
	s_waitcnt vmcnt(24)
	v_add_f32_e32 v62, v52, v54
	v_add_f32_e32 v61, v18, v52
	v_fmac_f32_e32 v18, -0.5, v62
	v_sub_f32_e32 v62, v53, v55
	v_mov_b32_e32 v63, v18
	v_fmac_f32_e32 v63, 0x3f5db3d7, v62
	v_fmac_f32_e32 v18, 0xbf5db3d7, v62
	v_add_f32_e32 v62, v19, v53
	v_add_f32_e32 v53, v53, v55
	v_fmac_f32_e32 v19, -0.5, v53
	s_waitcnt vmcnt(21)
	v_add_f32_e32 v53, v20, v42
	v_sub_f32_e32 v83, v52, v54
	v_add_f32_e32 v52, v20, v16
	v_fmac_f32_e32 v16, -0.5, v53
	v_add_f32_e32 v61, v61, v54
	v_add_f32_e32 v82, v62, v55
	v_sub_f32_e32 v53, v21, v43
	v_mov_b32_e32 v54, v16
	s_waitcnt vmcnt(18)
	v_add_f32_e32 v55, v22, v24
	v_fmac_f32_e32 v54, 0x3f5db3d7, v53
	v_fmac_f32_e32 v16, 0xbf5db3d7, v53
	v_add_f32_e32 v53, v22, v14
	v_fmac_f32_e32 v14, -0.5, v55
	v_sub_f32_e32 v55, v23, v25
	v_mov_b32_e32 v62, v14
	s_waitcnt vmcnt(15)
	v_add_f32_e32 v64, v26, v32
	v_fmac_f32_e32 v62, 0x3f5db3d7, v55
	v_fmac_f32_e32 v14, 0xbf5db3d7, v55
	v_add_f32_e32 v55, v12, v32
	v_fmac_f32_e32 v12, -0.5, v64
	;; [unrolled: 8-line block ×3, first 2 shown]
	v_sub_f32_e32 v71, v31, v29
	v_mov_b32_e32 v72, v10
	v_fmac_f32_e32 v72, 0x3f5db3d7, v71
	v_fmac_f32_e32 v10, 0xbf5db3d7, v71
	s_waitcnt vmcnt(10)
	v_add_f32_e32 v71, v8, v34
	s_waitcnt vmcnt(9)
	v_add_f32_e32 v73, v71, v50
	v_add_f32_e32 v71, v34, v50
	v_fmac_f32_e32 v8, -0.5, v71
	v_sub_f32_e32 v71, v35, v51
	v_mov_b32_e32 v74, v8
	v_fmac_f32_e32 v74, 0x3f5db3d7, v71
	v_fmac_f32_e32 v8, 0xbf5db3d7, v71
	s_waitcnt vmcnt(7)
	v_add_f32_e32 v71, v2, v48
	s_waitcnt vmcnt(6)
	v_add_f32_e32 v75, v46, v71
	v_add_f32_e32 v71, v46, v48
	v_fmac_f32_e32 v2, -0.5, v71
	;; [unrolled: 10-line block ×3, first 2 shown]
	v_sub_f32_e32 v71, v37, v39
	v_mov_b32_e32 v78, v4
	v_fmac_f32_e32 v78, 0x3f5db3d7, v71
	v_fmac_f32_e32 v4, 0xbf5db3d7, v71
	s_waitcnt vmcnt(1)
	v_add_f32_e32 v71, v40, v6
	s_waitcnt vmcnt(0)
	v_add_f32_e32 v79, v44, v71
	v_add_f32_e32 v71, v40, v44
	v_mad_u32_u24 v85, v66, 12, 0
	v_add_f32_e32 v52, v42, v52
	v_add_f32_e32 v53, v24, v53
	v_fmac_f32_e32 v6, -0.5, v71
	ds_write_b32 v85, v18 offset:8
	v_mad_i32_i24 v18, v70, 12, 0
	v_mad_i32_i24 v71, v69, 12, 0
	v_add_f32_e32 v55, v26, v55
	v_add_f32_e32 v64, v28, v64
	ds_write2_b32 v85, v61, v63 offset1:1
	ds_write2_b32 v18, v52, v54 offset1:1
	ds_write_b32 v18, v16 offset:8
	ds_write2_b32 v71, v53, v62 offset1:1
	ds_write_b32 v71, v14 offset:8
	v_mad_i32_i24 v53, v67, 12, 0
	v_mad_i32_i24 v104, v56, 12, 0
	;; [unrolled: 1-line block ×4, first 2 shown]
	ds_write2_b32 v53, v55, v65 offset1:1
	ds_write_b32 v53, v12 offset:8
	ds_write2_b32 v104, v64, v72 offset1:1
	ds_write_b32 v104, v10 offset:8
	;; [unrolled: 2-line block ×4, first 2 shown]
	v_lshlrev_b32_e32 v2, 3, v56
	v_sub_u32_e32 v65, v104, v2
	v_lshlrev_b32_e32 v2, 3, v57
	v_sub_u32_e32 v72, v105, v2
	v_lshlrev_b32_e32 v2, 3, v58
	v_mad_i32_i24 v107, v59, 12, 0
	v_sub_u32_e32 v73, v106, v2
	v_lshlrev_b32_e32 v2, 3, v59
	v_sub_f32_e32 v61, v41, v45
	v_mov_b32_e32 v63, v6
	v_mad_i32_i24 v108, v60, 12, 0
	v_sub_u32_e32 v74, v107, v2
	v_lshlrev_b32_e32 v2, 3, v60
	v_mov_b32_e32 v84, v19
	v_fmac_f32_e32 v63, 0x3f5db3d7, v61
	v_fmac_f32_e32 v6, 0xbf5db3d7, v61
	v_lshl_add_u32 v14, v66, 2, 0
	v_lshlrev_b32_e32 v64, 3, v70
	v_sub_u32_e32 v75, v108, v2
	v_lshlrev_b32_e32 v12, 3, v69
	v_lshlrev_b32_e32 v62, 3, v67
	v_fmac_f32_e32 v19, 0x3f5db3d7, v83
	ds_write2_b32 v107, v77, v78 offset1:1
	ds_write_b32 v107, v4 offset:8
	ds_write2_b32 v108, v79, v63 offset1:1
	ds_write_b32 v108, v6 offset:8
	s_waitcnt lgkmcnt(0)
	; wave barrier
	s_waitcnt lgkmcnt(0)
	v_add_u32_e32 v52, 0x800, v14
	v_add_u32_e32 v54, 0x1000, v14
	v_sub_u32_e32 v16, v18, v64
	v_sub_u32_e32 v63, v71, v12
	;; [unrolled: 1-line block ×3, first 2 shown]
	v_add_u32_e32 v55, 0x1400, v14
	v_add_u32_e32 v61, 0xc00, v14
	ds_read_b32 v81, v14
	ds_read_b32 v80, v16
	;; [unrolled: 1-line block ×8, first 2 shown]
	v_add_u32_e32 v77, 0x1800, v14
	ds_read_b32 v2, v75
	ds_read2_b32 v[86:87], v52 offset0:55 offset1:118
	ds_read2_b32 v[88:89], v54 offset0:47 offset1:110
	;; [unrolled: 1-line block ×9, first 2 shown]
	s_waitcnt lgkmcnt(0)
	; wave barrier
	s_waitcnt lgkmcnt(0)
	ds_write_b32 v85, v19 offset:8
	v_add_f32_e32 v19, v21, v17
	v_add_f32_e32 v21, v21, v43
	v_sub_f32_e32 v20, v20, v42
	v_add_f32_e32 v42, v23, v15
	v_add_f32_e32 v23, v23, v25
	v_fmac_f32_e32 v17, -0.5, v21
	v_fmac_f32_e32 v84, 0xbf5db3d7, v83
	v_sub_f32_e32 v22, v22, v24
	v_add_f32_e32 v24, v25, v42
	v_add_f32_e32 v25, v13, v33
	;; [unrolled: 1-line block ×3, first 2 shown]
	v_mov_b32_e32 v21, v17
	v_fmac_f32_e32 v17, 0x3f5db3d7, v20
	v_fmac_f32_e32 v15, -0.5, v23
	ds_write2_b32 v85, v82, v84 offset1:1
	v_add_f32_e32 v19, v43, v19
	v_sub_f32_e32 v26, v32, v26
	v_add_f32_e32 v25, v27, v25
	v_add_f32_e32 v27, v31, v11
	;; [unrolled: 1-line block ×3, first 2 shown]
	v_fmac_f32_e32 v21, 0xbf5db3d7, v20
	ds_write_b32 v18, v17 offset:8
	v_mov_b32_e32 v17, v15
	v_fmac_f32_e32 v15, 0x3f5db3d7, v22
	v_fmac_f32_e32 v13, -0.5, v33
	v_add_f32_e32 v43, v5, v37
	ds_write2_b32 v18, v19, v21 offset1:1
	v_fmac_f32_e32 v17, 0xbf5db3d7, v22
	ds_write_b32 v71, v15 offset:8
	v_mov_b32_e32 v15, v13
	v_fmac_f32_e32 v13, 0x3f5db3d7, v26
	v_fmac_f32_e32 v11, -0.5, v31
	v_sub_f32_e32 v28, v30, v28
	v_add_f32_e32 v27, v29, v27
	v_add_f32_e32 v29, v9, v35
	;; [unrolled: 1-line block ×5, first 2 shown]
	v_sub_f32_e32 v36, v36, v38
	v_add_f32_e32 v38, v43, v39
	v_add_f32_e32 v39, v41, v7
	v_add_f32_e32 v41, v41, v45
	ds_write2_b32 v71, v24, v17 offset1:1
	ds_write_b32 v53, v13 offset:8
	v_mov_b32_e32 v13, v11
	v_sub_f32_e32 v32, v34, v50
	v_add_f32_e32 v34, v3, v49
	v_sub_f32_e32 v42, v48, v46
	v_fmac_f32_e32 v15, 0xbf5db3d7, v26
	v_fmac_f32_e32 v13, 0xbf5db3d7, v28
	v_fmac_f32_e32 v9, -0.5, v30
	v_fmac_f32_e32 v3, -0.5, v35
	;; [unrolled: 1-line block ×4, first 2 shown]
	v_sub_f32_e32 v40, v40, v44
	ds_write2_b32 v53, v25, v15 offset1:1
	ds_write2_b32 v104, v27, v13 offset1:1
	v_fmac_f32_e32 v11, 0x3f5db3d7, v28
	v_mov_b32_e32 v13, v9
	v_mov_b32_e32 v15, v3
	v_fmac_f32_e32 v3, 0x3f5db3d7, v42
	v_mov_b32_e32 v17, v5
	v_mov_b32_e32 v19, v7
	s_movk_i32 s0, 0xab
	v_add_f32_e32 v29, v29, v51
	v_add_f32_e32 v34, v47, v34
	;; [unrolled: 1-line block ×3, first 2 shown]
	v_fmac_f32_e32 v13, 0xbf5db3d7, v32
	v_fmac_f32_e32 v9, 0x3f5db3d7, v32
	;; [unrolled: 1-line block ×7, first 2 shown]
	ds_write_b32 v104, v11 offset:8
	ds_write2_b32 v105, v29, v13 offset1:1
	ds_write_b32 v105, v9 offset:8
	ds_write2_b32 v106, v34, v15 offset1:1
	;; [unrolled: 2-line block ×4, first 2 shown]
	ds_write_b32 v108, v7 offset:8
	v_mul_lo_u16_sdwa v3, v66, s0 dst_sel:DWORD dst_unused:UNUSED_PAD src0_sel:BYTE_0 src1_sel:DWORD
	v_lshrrev_b16_e32 v5, 9, v3
	v_mul_lo_u16_e32 v3, 3, v5
	v_sub_u16_e32 v7, v66, v3
	v_mov_b32_e32 v13, 4
	v_lshlrev_b32_sdwa v3, v13, v7 dst_sel:DWORD dst_unused:UNUSED_PAD src0_sel:DWORD src1_sel:BYTE_0
	s_waitcnt lgkmcnt(0)
	; wave barrier
	s_waitcnt lgkmcnt(0)
	global_load_dwordx4 v[19:22], v3, s[8:9]
	v_mul_lo_u16_sdwa v3, v70, s0 dst_sel:DWORD dst_unused:UNUSED_PAD src0_sel:BYTE_0 src1_sel:DWORD
	v_lshrrev_b16_e32 v3, 9, v3
	v_mul_lo_u16_e32 v9, 3, v3
	v_sub_u16_e32 v9, v70, v9
	v_lshlrev_b32_sdwa v11, v13, v9 dst_sel:DWORD dst_unused:UNUSED_PAD src0_sel:DWORD src1_sel:BYTE_0
	global_load_dwordx4 v[23:26], v11, s[8:9]
	v_mul_lo_u16_sdwa v11, v69, s0 dst_sel:DWORD dst_unused:UNUSED_PAD src0_sel:BYTE_0 src1_sel:DWORD
	v_lshrrev_b16_e32 v11, 9, v11
	v_mul_lo_u16_e32 v15, 3, v11
	v_sub_u16_e32 v17, v69, v15
	v_lshlrev_b32_sdwa v15, v13, v17 dst_sel:DWORD dst_unused:UNUSED_PAD src0_sel:DWORD src1_sel:BYTE_0
	;; [unrolled: 6-line block ×3, first 2 shown]
	s_mov_b32 s0, 0xaaab
	global_load_dwordx4 v[31:34], v15, s[8:9]
	v_mul_u32_u24_sdwa v15, v56, s0 dst_sel:DWORD dst_unused:UNUSED_PAD src0_sel:WORD_0 src1_sel:DWORD
	v_lshrrev_b32_e32 v111, 17, v15
	v_mul_lo_u16_e32 v15, 3, v111
	v_sub_u16_e32 v112, v56, v15
	v_lshlrev_b32_e32 v15, 4, v112
	global_load_dwordx4 v[35:38], v15, s[8:9]
	v_mul_u32_u24_sdwa v15, v57, s0 dst_sel:DWORD dst_unused:UNUSED_PAD src0_sel:WORD_0 src1_sel:DWORD
	v_lshrrev_b32_e32 v113, 17, v15
	v_mul_lo_u16_e32 v15, 3, v113
	v_sub_u16_e32 v114, v57, v15
	v_lshlrev_b32_e32 v15, 4, v114
	;; [unrolled: 6-line block ×5, first 2 shown]
	global_load_dwordx4 v[82:85], v15, s[8:9]
	ds_read2_b32 v[104:105], v52 offset0:55 offset1:118
	ds_read2_b32 v[106:107], v54 offset0:47 offset1:110
	;; [unrolled: 1-line block ×3, first 2 shown]
	v_mul_u32_u24_e32 v5, 36, v5
	v_mul_u32_u24_e32 v3, 36, v3
	s_mov_b32 s0, 0xe38f
	s_waitcnt vmcnt(8) lgkmcnt(2)
	v_mul_f32_e32 v15, v104, v20
	v_fma_f32 v121, v86, v19, -v15
	v_mul_f32_e32 v86, v86, v20
	v_fmac_f32_e32 v86, v104, v19
	s_waitcnt lgkmcnt(1)
	v_mul_f32_e32 v15, v107, v22
	ds_read2_b32 v[19:20], v52 offset0:181 offset1:244
	v_fma_f32 v104, v89, v21, -v15
	v_mul_f32_e32 v89, v89, v22
	v_fmac_f32_e32 v89, v107, v21
	s_waitcnt vmcnt(7)
	v_mul_f32_e32 v15, v105, v24
	ds_read2_b32 v[21:22], v55 offset0:43 offset1:106
	v_fma_f32 v107, v87, v23, -v15
	v_mul_f32_e32 v24, v87, v24
	s_waitcnt lgkmcnt(2)
	v_mul_f32_e32 v15, v108, v26
	v_fmac_f32_e32 v24, v105, v23
	v_fma_f32 v23, v90, v25, -v15
	v_mul_f32_e32 v26, v90, v26
	s_waitcnt vmcnt(6)
	v_mul_f32_e32 v15, v109, v30
	v_fmac_f32_e32 v26, v108, v25
	v_fma_f32 v25, v91, v29, -v15
	v_mul_f32_e32 v30, v91, v30
	s_waitcnt lgkmcnt(1)
	v_mul_f32_e32 v15, v19, v28
	v_fmac_f32_e32 v30, v109, v29
	v_fma_f32 v29, v92, v27, -v15
	v_mul_f32_e32 v28, v92, v28
	s_waitcnt vmcnt(5)
	v_mul_f32_e32 v15, v20, v32
	v_mul_f32_e32 v32, v93, v32
	v_fmac_f32_e32 v28, v19, v27
	v_fma_f32 v27, v93, v31, -v15
	v_fmac_f32_e32 v32, v20, v31
	s_waitcnt lgkmcnt(0)
	v_mul_f32_e32 v15, v21, v34
	ds_read2_b32 v[19:20], v61 offset0:51 offset1:114
	v_fma_f32 v31, v94, v33, -v15
	v_mul_f32_e32 v34, v94, v34
	s_waitcnt vmcnt(4)
	v_mul_f32_e32 v15, v22, v38
	v_mul_f32_e32 v38, v95, v38
	v_fmac_f32_e32 v34, v21, v33
	v_fmac_f32_e32 v38, v22, v37
	ds_read2_b32 v[21:22], v55 offset0:169 offset1:232
	v_fma_f32 v33, v95, v37, -v15
	s_waitcnt lgkmcnt(1)
	v_mul_f32_e32 v15, v19, v36
	v_fma_f32 v37, v96, v35, -v15
	v_mul_f32_e32 v36, v96, v36
	s_waitcnt vmcnt(3)
	v_mul_f32_e32 v15, v20, v40
	v_mul_f32_e32 v40, v97, v40
	v_fmac_f32_e32 v36, v19, v35
	v_fma_f32 v35, v97, v39, -v15
	v_fmac_f32_e32 v40, v20, v39
	s_waitcnt lgkmcnt(0)
	v_mul_f32_e32 v15, v21, v42
	ds_read2_b32 v[19:20], v61 offset0:177 offset1:240
	v_fma_f32 v39, v98, v41, -v15
	v_mul_f32_e32 v42, v98, v42
	s_waitcnt vmcnt(2)
	v_mul_f32_e32 v15, v22, v46
	v_mul_f32_e32 v46, v99, v46
	v_fmac_f32_e32 v42, v21, v41
	v_fmac_f32_e32 v46, v22, v45
	ds_read2_b32 v[21:22], v77 offset0:39 offset1:102
	v_fma_f32 v41, v99, v45, -v15
	s_waitcnt lgkmcnt(1)
	v_mul_f32_e32 v15, v19, v44
	v_fma_f32 v45, v100, v43, -v15
	v_mul_f32_e32 v44, v100, v44
	s_waitcnt vmcnt(1)
	v_mul_f32_e32 v15, v20, v48
	v_fmac_f32_e32 v44, v19, v43
	v_fma_f32 v19, v101, v47, -v15
	v_mul_f32_e32 v43, v101, v48
	s_waitcnt lgkmcnt(0)
	v_mul_f32_e32 v15, v21, v50
	v_fmac_f32_e32 v43, v20, v47
	v_fma_f32 v20, v102, v49, -v15
	v_mul_f32_e32 v47, v102, v50
	s_waitcnt vmcnt(0)
	v_mul_f32_e32 v15, v106, v83
	v_fmac_f32_e32 v47, v21, v49
	v_fma_f32 v21, v88, v82, -v15
	v_mul_f32_e32 v48, v88, v83
	v_mul_f32_e32 v15, v22, v85
	v_fmac_f32_e32 v48, v106, v82
	v_fma_f32 v82, v103, v84, -v15
	v_mul_f32_e32 v83, v103, v85
	v_add_f32_e32 v15, v121, v104
	v_fmac_f32_e32 v83, v22, v84
	v_add_f32_e32 v22, v81, v121
	v_fmac_f32_e32 v81, -0.5, v15
	v_mov_b32_e32 v15, 2
	v_lshlrev_b32_sdwa v7, v15, v7 dst_sel:DWORD dst_unused:UNUSED_PAD src0_sel:DWORD src1_sel:BYTE_0
	v_add3_u32 v84, 0, v5, v7
	v_add_f32_e32 v5, v22, v104
	v_sub_f32_e32 v7, v86, v89
	v_mov_b32_e32 v22, v81
	v_fmac_f32_e32 v22, 0x3f5db3d7, v7
	v_fmac_f32_e32 v81, 0xbf5db3d7, v7
	v_add_f32_e32 v7, v107, v23
	ds_read_b32 v85, v14
	ds_read_b32 v100, v16
	;; [unrolled: 1-line block ×9, first 2 shown]
	s_waitcnt lgkmcnt(0)
	; wave barrier
	s_waitcnt lgkmcnt(0)
	ds_write2_b32 v84, v5, v22 offset1:3
	v_add_f32_e32 v5, v80, v107
	v_fmac_f32_e32 v80, -0.5, v7
	v_lshlrev_b32_sdwa v7, v15, v9 dst_sel:DWORD dst_unused:UNUSED_PAD src0_sel:DWORD src1_sel:BYTE_0
	v_add3_u32 v22, 0, v3, v7
	v_add_f32_e32 v3, v5, v23
	v_sub_f32_e32 v5, v24, v26
	v_mov_b32_e32 v7, v80
	v_fmac_f32_e32 v7, 0x3f5db3d7, v5
	v_fmac_f32_e32 v80, 0xbf5db3d7, v5
	v_add_f32_e32 v5, v29, v25
	ds_write_b32 v84, v81 offset:24
	ds_write2_b32 v22, v3, v7 offset1:3
	v_add_f32_e32 v3, v79, v29
	v_fmac_f32_e32 v79, -0.5, v5
	v_mul_u32_u24_e32 v5, 36, v11
	v_lshlrev_b32_sdwa v7, v15, v17 dst_sel:DWORD dst_unused:UNUSED_PAD src0_sel:DWORD src1_sel:BYTE_0
	ds_write_b32 v22, v80 offset:24
	v_add3_u32 v80, 0, v5, v7
	v_sub_f32_e32 v5, v28, v30
	v_mov_b32_e32 v7, v79
	v_add_f32_e32 v3, v3, v25
	v_fmac_f32_e32 v7, 0x3f5db3d7, v5
	v_fmac_f32_e32 v79, 0xbf5db3d7, v5
	v_add_f32_e32 v5, v27, v31
	ds_write2_b32 v80, v3, v7 offset1:3
	v_add_f32_e32 v3, v78, v27
	v_fmac_f32_e32 v78, -0.5, v5
	v_mul_u32_u24_e32 v5, 36, v51
	v_lshlrev_b32_sdwa v7, v15, v110 dst_sel:DWORD dst_unused:UNUSED_PAD src0_sel:DWORD src1_sel:BYTE_0
	v_add3_u32 v51, 0, v5, v7
	v_sub_f32_e32 v5, v32, v34
	v_mov_b32_e32 v7, v78
	v_add_f32_e32 v3, v3, v31
	v_fmac_f32_e32 v7, 0x3f5db3d7, v5
	v_fmac_f32_e32 v78, 0xbf5db3d7, v5
	v_add_f32_e32 v5, v37, v33
	ds_write_b32 v80, v79 offset:24
	ds_write2_b32 v51, v3, v7 offset1:3
	v_add_f32_e32 v3, v10, v37
	v_fmac_f32_e32 v10, -0.5, v5
	v_mul_u32_u24_e32 v5, 36, v111
	v_lshlrev_b32_e32 v7, 2, v112
	ds_write_b32 v51, v78 offset:24
	v_add3_u32 v78, 0, v5, v7
	v_sub_f32_e32 v5, v36, v38
	v_mov_b32_e32 v7, v10
	v_add_f32_e32 v3, v3, v33
	v_fmac_f32_e32 v7, 0x3f5db3d7, v5
	v_fmac_f32_e32 v10, 0xbf5db3d7, v5
	v_add_f32_e32 v5, v35, v39
	ds_write2_b32 v78, v3, v7 offset1:3
	v_add_f32_e32 v3, v8, v35
	v_fmac_f32_e32 v8, -0.5, v5
	v_mul_u32_u24_e32 v5, 36, v113
	v_lshlrev_b32_e32 v7, 2, v114
	v_add3_u32 v79, 0, v5, v7
	v_sub_f32_e32 v5, v40, v42
	v_mov_b32_e32 v7, v8
	v_add_f32_e32 v3, v3, v39
	v_fmac_f32_e32 v7, 0x3f5db3d7, v5
	v_fmac_f32_e32 v8, 0xbf5db3d7, v5
	v_add_f32_e32 v5, v45, v41
	ds_write_b32 v78, v10 offset:24
	ds_write2_b32 v79, v3, v7 offset1:3
	v_add_f32_e32 v3, v6, v45
	v_fmac_f32_e32 v6, -0.5, v5
	v_mul_u32_u24_e32 v5, 36, v115
	v_lshlrev_b32_e32 v7, 2, v116
	v_add3_u32 v81, 0, v5, v7
	v_sub_f32_e32 v5, v44, v46
	v_mov_b32_e32 v7, v6
	v_add_f32_e32 v3, v3, v41
	v_fmac_f32_e32 v7, 0x3f5db3d7, v5
	v_fmac_f32_e32 v6, 0xbf5db3d7, v5
	v_add_f32_e32 v5, v19, v20
	ds_write_b32 v79, v8 offset:24
	ds_write2_b32 v81, v3, v7 offset1:3
	v_add_f32_e32 v3, v4, v19
	v_fmac_f32_e32 v4, -0.5, v5
	ds_write_b32 v81, v6 offset:24
	v_mul_u32_u24_e32 v5, 36, v117
	v_lshlrev_b32_e32 v6, 2, v118
	v_add3_u32 v110, 0, v5, v6
	v_sub_f32_e32 v5, v43, v47
	v_mov_b32_e32 v6, v4
	v_add_f32_e32 v3, v3, v20
	v_fmac_f32_e32 v6, 0x3f5db3d7, v5
	v_fmac_f32_e32 v4, 0xbf5db3d7, v5
	v_add_f32_e32 v5, v21, v82
	ds_write2_b32 v110, v3, v6 offset1:3
	v_add_f32_e32 v3, v2, v21
	v_fmac_f32_e32 v2, -0.5, v5
	ds_write_b32 v110, v4 offset:24
	v_mul_u32_u24_e32 v4, 36, v119
	v_lshlrev_b32_e32 v5, 2, v120
	v_add3_u32 v111, 0, v4, v5
	v_sub_f32_e32 v4, v48, v83
	v_mov_b32_e32 v5, v2
	v_add_f32_e32 v3, v3, v82
	v_fmac_f32_e32 v5, 0x3f5db3d7, v4
	ds_write2_b32 v111, v3, v5 offset1:3
	v_add_f32_e32 v3, v85, v86
	v_add_f32_e32 v112, v3, v89
	v_add_f32_e32 v3, v86, v89
	v_fmac_f32_e32 v85, -0.5, v3
	v_sub_f32_e32 v104, v121, v104
	v_mov_b32_e32 v113, v85
	v_fmac_f32_e32 v2, 0xbf5db3d7, v4
	v_fmac_f32_e32 v113, 0xbf5db3d7, v104
	;; [unrolled: 1-line block ×3, first 2 shown]
	ds_write_b32 v111, v2 offset:24
	s_waitcnt lgkmcnt(0)
	; wave barrier
	s_waitcnt lgkmcnt(0)
	ds_read_b32 v17, v14
	ds_read_b32 v11, v16
	;; [unrolled: 1-line block ×9, first 2 shown]
	ds_read2_b32 v[49:50], v52 offset0:55 offset1:118
	ds_read2_b32 v[2:3], v54 offset0:47 offset1:110
	;; [unrolled: 1-line block ×9, first 2 shown]
	s_waitcnt lgkmcnt(0)
	; wave barrier
	s_waitcnt lgkmcnt(0)
	ds_write2_b32 v84, v112, v113 offset1:3
	ds_write_b32 v84, v85 offset:24
	v_add_f32_e32 v84, v100, v24
	v_add_f32_e32 v24, v24, v26
	v_fmac_f32_e32 v100, -0.5, v24
	v_sub_f32_e32 v23, v107, v23
	v_mov_b32_e32 v24, v100
	v_add_f32_e32 v84, v84, v26
	v_fmac_f32_e32 v24, 0xbf5db3d7, v23
	v_fmac_f32_e32 v100, 0x3f5db3d7, v23
	v_add_f32_e32 v23, v28, v30
	ds_write2_b32 v22, v84, v24 offset1:3
	ds_write_b32 v22, v100 offset:24
	v_add_f32_e32 v22, v101, v28
	v_fmac_f32_e32 v101, -0.5, v23
	v_sub_f32_e32 v23, v29, v25
	v_mov_b32_e32 v24, v101
	v_add_f32_e32 v22, v22, v30
	v_fmac_f32_e32 v24, 0xbf5db3d7, v23
	v_fmac_f32_e32 v101, 0x3f5db3d7, v23
	v_add_f32_e32 v23, v32, v34
	ds_write2_b32 v80, v22, v24 offset1:3
	v_add_f32_e32 v22, v102, v32
	v_fmac_f32_e32 v102, -0.5, v23
	v_sub_f32_e32 v23, v27, v31
	v_mov_b32_e32 v24, v102
	v_add_f32_e32 v22, v22, v34
	v_fmac_f32_e32 v24, 0xbf5db3d7, v23
	v_fmac_f32_e32 v102, 0x3f5db3d7, v23
	v_add_f32_e32 v23, v36, v38
	ds_write_b32 v80, v101 offset:24
	ds_write2_b32 v51, v22, v24 offset1:3
	v_add_f32_e32 v22, v103, v36
	v_fmac_f32_e32 v103, -0.5, v23
	v_sub_f32_e32 v23, v37, v33
	v_mov_b32_e32 v24, v103
	v_add_f32_e32 v25, v40, v42
	v_fmac_f32_e32 v24, 0xbf5db3d7, v23
	v_fmac_f32_e32 v103, 0x3f5db3d7, v23
	v_add_f32_e32 v23, v105, v40
	v_fmac_f32_e32 v105, -0.5, v25
	v_sub_f32_e32 v25, v35, v39
	v_mov_b32_e32 v26, v105
	v_add_f32_e32 v27, v44, v46
	v_fmac_f32_e32 v26, 0xbf5db3d7, v25
	v_fmac_f32_e32 v105, 0x3f5db3d7, v25
	;; [unrolled: 7-line block ×4, first 2 shown]
	v_add_f32_e32 v19, v109, v48
	v_fmac_f32_e32 v109, -0.5, v29
	v_add_f32_e32 v19, v19, v83
	v_sub_f32_e32 v21, v21, v82
	v_mov_b32_e32 v29, v109
	v_mov_b32_e32 v33, 57
	v_add_f32_e32 v22, v22, v38
	v_add_f32_e32 v23, v23, v42
	;; [unrolled: 1-line block ×4, first 2 shown]
	v_fmac_f32_e32 v29, 0xbf5db3d7, v21
	v_fmac_f32_e32 v109, 0x3f5db3d7, v21
	ds_write_b32 v51, v102 offset:24
	ds_write2_b32 v78, v22, v24 offset1:3
	ds_write_b32 v78, v103 offset:24
	ds_write2_b32 v79, v23, v26 offset1:3
	;; [unrolled: 2-line block ×5, first 2 shown]
	ds_write_b32 v111, v109 offset:24
	v_mul_lo_u16_sdwa v19, v66, v33 dst_sel:DWORD dst_unused:UNUSED_PAD src0_sel:BYTE_0 src1_sel:DWORD
	v_lshrrev_b16_e32 v51, 9, v19
	v_mul_lo_u16_e32 v19, 9, v51
	v_mul_lo_u16_sdwa v29, v69, v33 dst_sel:DWORD dst_unused:UNUSED_PAD src0_sel:BYTE_0 src1_sel:DWORD
	v_sub_u16_e32 v104, v66, v19
	v_lshrrev_b16_e32 v105, 9, v29
	v_lshlrev_b32_sdwa v19, v13, v104 dst_sel:DWORD dst_unused:UNUSED_PAD src0_sel:DWORD src1_sel:BYTE_0
	v_mul_lo_u16_e32 v29, 9, v105
	s_waitcnt lgkmcnt(0)
	; wave barrier
	s_waitcnt lgkmcnt(0)
	global_load_dwordx4 v[21:24], v19, s[8:9] offset:48
	v_sub_u16_e32 v106, v69, v29
	v_lshlrev_b32_sdwa v29, v13, v106 dst_sel:DWORD dst_unused:UNUSED_PAD src0_sel:DWORD src1_sel:BYTE_0
	global_load_dwordx4 v[29:32], v29, s[8:9] offset:48
	v_mul_lo_u16_sdwa v19, v70, v33 dst_sel:DWORD dst_unused:UNUSED_PAD src0_sel:BYTE_0 src1_sel:DWORD
	v_lshrrev_b16_e32 v19, 9, v19
	v_mul_lo_u16_e32 v20, 9, v19
	v_sub_u16_e32 v20, v70, v20
	v_lshlrev_b32_sdwa v25, v13, v20 dst_sel:DWORD dst_unused:UNUSED_PAD src0_sel:DWORD src1_sel:BYTE_0
	global_load_dwordx4 v[25:28], v25, s[8:9] offset:48
	v_mul_lo_u16_sdwa v33, v67, v33 dst_sel:DWORD dst_unused:UNUSED_PAD src0_sel:BYTE_0 src1_sel:DWORD
	v_lshrrev_b16_e32 v107, 9, v33
	v_mul_lo_u16_e32 v33, 9, v107
	v_sub_u16_e32 v108, v67, v33
	v_lshlrev_b32_sdwa v33, v13, v108 dst_sel:DWORD dst_unused:UNUSED_PAD src0_sel:DWORD src1_sel:BYTE_0
	global_load_dwordx4 v[33:36], v33, s[8:9] offset:48
	v_mul_u32_u24_sdwa v37, v56, s0 dst_sel:DWORD dst_unused:UNUSED_PAD src0_sel:WORD_0 src1_sel:DWORD
	v_lshrrev_b32_e32 v109, 19, v37
	v_mul_lo_u16_e32 v37, 9, v109
	v_sub_u16_e32 v110, v56, v37
	v_lshlrev_b32_e32 v37, 4, v110
	global_load_dwordx4 v[37:40], v37, s[8:9] offset:48
	v_mul_u32_u24_sdwa v41, v57, s0 dst_sel:DWORD dst_unused:UNUSED_PAD src0_sel:WORD_0 src1_sel:DWORD
	v_lshrrev_b32_e32 v111, 19, v41
	v_mul_lo_u16_e32 v41, 9, v111
	v_sub_u16_e32 v112, v57, v41
	v_lshlrev_b32_e32 v41, 4, v112
	;; [unrolled: 6-line block ×3, first 2 shown]
	global_load_dwordx4 v[45:48], v45, s[8:9] offset:48
	v_mul_u32_u24_sdwa v78, v59, s0 dst_sel:DWORD dst_unused:UNUSED_PAD src0_sel:WORD_0 src1_sel:DWORD
	v_lshrrev_b32_e32 v115, 19, v78
	v_mul_lo_u16_e32 v78, 9, v115
	v_mul_u32_u24_sdwa v82, v60, s0 dst_sel:DWORD dst_unused:UNUSED_PAD src0_sel:WORD_0 src1_sel:DWORD
	v_sub_u16_e32 v116, v59, v78
	v_lshrrev_b32_e32 v117, 19, v82
	v_lshlrev_b32_e32 v78, 4, v116
	global_load_dwordx4 v[78:81], v78, s[8:9] offset:48
	v_mul_lo_u16_e32 v82, 9, v117
	v_sub_u16_e32 v118, v60, v82
	v_lshlrev_b32_e32 v82, 4, v118
	global_load_dwordx4 v[82:85], v82, s[8:9] offset:48
	ds_read2_b32 v[100:101], v52 offset0:55 offset1:118
	ds_read2_b32 v[102:103], v54 offset0:47 offset1:110
	s_movk_i32 s0, 0x2f69
	s_waitcnt vmcnt(8) lgkmcnt(1)
	v_mul_f32_e32 v119, v100, v22
	v_fma_f32 v119, v49, v21, -v119
	v_mul_f32_e32 v49, v49, v22
	v_fmac_f32_e32 v49, v100, v21
	s_waitcnt lgkmcnt(0)
	v_mul_f32_e32 v21, v103, v24
	v_fma_f32 v100, v3, v23, -v21
	ds_read2_b32 v[21:22], v54 offset0:173 offset1:236
	v_mul_f32_e32 v3, v3, v24
	v_fmac_f32_e32 v3, v103, v23
	s_waitcnt vmcnt(6)
	v_mul_f32_e32 v23, v101, v26
	v_fma_f32 v120, v50, v25, -v23
	s_waitcnt lgkmcnt(0)
	v_mul_f32_e32 v23, v21, v28
	v_fma_f32 v121, v86, v27, -v23
	ds_read2_b32 v[23:24], v52 offset0:181 offset1:244
	v_mul_f32_e32 v28, v86, v28
	v_fmac_f32_e32 v28, v21, v27
	v_mul_f32_e32 v21, v22, v32
	v_fma_f32 v27, v87, v31, -v21
	v_mul_f32_e32 v32, v87, v32
	s_waitcnt lgkmcnt(0)
	v_mul_f32_e32 v21, v23, v30
	v_fmac_f32_e32 v32, v22, v31
	v_fma_f32 v31, v88, v29, -v21
	ds_read2_b32 v[21:22], v55 offset0:43 offset1:106
	v_mul_f32_e32 v30, v88, v30
	v_fmac_f32_e32 v30, v23, v29
	s_waitcnt vmcnt(5)
	v_mul_f32_e32 v23, v24, v34
	v_fma_f32 v29, v89, v33, -v23
	v_mul_f32_e32 v34, v89, v34
	s_waitcnt lgkmcnt(0)
	v_mul_f32_e32 v23, v21, v36
	v_fmac_f32_e32 v34, v24, v33
	v_fma_f32 v33, v90, v35, -v23
	ds_read2_b32 v[23:24], v61 offset0:51 offset1:114
	v_mul_f32_e32 v36, v90, v36
	v_fmac_f32_e32 v36, v21, v35
	s_waitcnt vmcnt(4)
	;; [unrolled: 11-line block ×5, first 2 shown]
	v_mul_f32_e32 v23, v24, v79
	v_fma_f32 v45, v97, v78, -v23
	s_waitcnt lgkmcnt(0)
	v_mul_f32_e32 v23, v21, v81
	v_mul_f32_e32 v81, v98, v81
	;; [unrolled: 1-line block ×3, first 2 shown]
	v_fmac_f32_e32 v81, v21, v80
	s_waitcnt vmcnt(0)
	v_mul_f32_e32 v21, v102, v83
	v_fmac_f32_e32 v79, v24, v78
	v_fma_f32 v78, v98, v80, -v23
	v_fma_f32 v80, v2, v82, -v21
	v_mul_f32_e32 v83, v2, v83
	v_mul_f32_e32 v2, v22, v85
	;; [unrolled: 1-line block ×3, first 2 shown]
	v_add_f32_e32 v21, v119, v100
	v_fmac_f32_e32 v83, v102, v82
	v_fma_f32 v82, v99, v84, -v2
	v_fmac_f32_e32 v85, v22, v84
	v_add_f32_e32 v2, v17, v119
	v_fmac_f32_e32 v17, -0.5, v21
	v_mul_u32_u24_e32 v21, 0x6c, v51
	v_lshlrev_b32_sdwa v22, v15, v104 dst_sel:DWORD dst_unused:UNUSED_PAD src0_sel:DWORD src1_sel:BYTE_0
	v_add3_u32 v51, 0, v21, v22
	v_sub_f32_e32 v21, v49, v3
	v_mov_b32_e32 v22, v17
	v_mul_f32_e32 v50, v50, v26
	v_add_f32_e32 v2, v2, v100
	v_fmac_f32_e32 v22, 0x3f5db3d7, v21
	v_fmac_f32_e32 v17, 0xbf5db3d7, v21
	v_add_f32_e32 v21, v120, v121
	v_fmac_f32_e32 v50, v101, v25
	ds_read_b32 v84, v14
	ds_read_b32 v86, v16
	;; [unrolled: 1-line block ×9, first 2 shown]
	s_waitcnt lgkmcnt(0)
	; wave barrier
	s_waitcnt lgkmcnt(0)
	ds_write2_b32 v51, v2, v22 offset1:9
	v_add_f32_e32 v2, v11, v120
	v_fmac_f32_e32 v11, -0.5, v21
	ds_write_b32 v51, v17 offset:72
	v_mul_u32_u24_e32 v17, 0x6c, v19
	v_lshlrev_b32_sdwa v19, v15, v20 dst_sel:DWORD dst_unused:UNUSED_PAD src0_sel:DWORD src1_sel:BYTE_0
	v_add3_u32 v94, 0, v17, v19
	v_sub_f32_e32 v17, v50, v28
	v_mov_b32_e32 v19, v11
	v_add_f32_e32 v2, v2, v121
	v_fmac_f32_e32 v19, 0x3f5db3d7, v17
	v_fmac_f32_e32 v11, 0xbf5db3d7, v17
	v_add_f32_e32 v17, v31, v27
	ds_write2_b32 v94, v2, v19 offset1:9
	v_add_f32_e32 v2, v10, v31
	v_fmac_f32_e32 v10, -0.5, v17
	ds_write_b32 v94, v11 offset:72
	v_mul_u32_u24_e32 v11, 0x6c, v105
	v_lshlrev_b32_sdwa v17, v15, v106 dst_sel:DWORD dst_unused:UNUSED_PAD src0_sel:DWORD src1_sel:BYTE_0
	v_add3_u32 v95, 0, v11, v17
	v_sub_f32_e32 v11, v30, v32
	v_mov_b32_e32 v17, v10
	v_add_f32_e32 v2, v2, v27
	v_fmac_f32_e32 v17, 0x3f5db3d7, v11
	v_fmac_f32_e32 v10, 0xbf5db3d7, v11
	v_add_f32_e32 v11, v29, v33
	;; [unrolled: 13-line block ×3, first 2 shown]
	ds_write2_b32 v96, v2, v11 offset1:9
	v_add_f32_e32 v2, v8, v39
	v_fmac_f32_e32 v8, -0.5, v10
	ds_write_b32 v96, v9 offset:72
	v_mul_u32_u24_e32 v9, 0x6c, v109
	v_lshlrev_b32_e32 v10, 2, v110
	v_add3_u32 v97, 0, v9, v10
	v_sub_f32_e32 v9, v38, v40
	v_mov_b32_e32 v10, v8
	v_add_f32_e32 v2, v2, v35
	v_fmac_f32_e32 v10, 0x3f5db3d7, v9
	v_fmac_f32_e32 v8, 0xbf5db3d7, v9
	v_add_f32_e32 v9, v37, v41
	ds_write2_b32 v97, v2, v10 offset1:9
	v_add_f32_e32 v2, v7, v37
	v_fmac_f32_e32 v7, -0.5, v9
	ds_write_b32 v97, v8 offset:72
	v_mul_u32_u24_e32 v8, 0x6c, v111
	v_lshlrev_b32_e32 v9, 2, v112
	v_add3_u32 v106, 0, v8, v9
	v_sub_f32_e32 v8, v42, v44
	v_mov_b32_e32 v9, v7
	v_add_f32_e32 v2, v2, v41
	v_fmac_f32_e32 v9, 0x3f5db3d7, v8
	v_fmac_f32_e32 v7, 0xbf5db3d7, v8
	v_add_f32_e32 v8, v47, v43
	;; [unrolled: 13-line block ×4, first 2 shown]
	ds_write2_b32 v108, v2, v7 offset1:9
	v_add_f32_e32 v2, v4, v80
	v_fmac_f32_e32 v4, -0.5, v6
	ds_write_b32 v108, v5 offset:72
	v_mul_u32_u24_e32 v5, 0x6c, v117
	v_lshlrev_b32_e32 v6, 2, v118
	v_add3_u32 v109, 0, v5, v6
	v_sub_f32_e32 v5, v83, v85
	v_mov_b32_e32 v6, v4
	v_add_f32_e32 v2, v2, v82
	v_fmac_f32_e32 v6, 0x3f5db3d7, v5
	ds_write2_b32 v109, v2, v6 offset1:9
	v_add_f32_e32 v2, v84, v49
	v_add_f32_e32 v110, v2, v3
	;; [unrolled: 1-line block ×3, first 2 shown]
	v_fmac_f32_e32 v84, -0.5, v2
	v_sub_f32_e32 v49, v119, v100
	v_mov_b32_e32 v111, v84
	v_fmac_f32_e32 v111, 0xbf5db3d7, v49
	v_fmac_f32_e32 v84, 0x3f5db3d7, v49
	v_add_f32_e32 v49, v86, v50
	v_add_f32_e32 v49, v49, v28
	;; [unrolled: 1-line block ×3, first 2 shown]
	v_fmac_f32_e32 v86, -0.5, v28
	v_sub_f32_e32 v28, v120, v121
	v_mov_b32_e32 v50, v86
	v_fmac_f32_e32 v50, 0xbf5db3d7, v28
	v_fmac_f32_e32 v86, 0x3f5db3d7, v28
	v_add_f32_e32 v28, v87, v30
	v_add_f32_e32 v30, v30, v32
	v_fmac_f32_e32 v87, -0.5, v30
	v_sub_f32_e32 v27, v31, v27
	v_mov_b32_e32 v30, v87
	v_fmac_f32_e32 v4, 0xbf5db3d7, v5
	v_add_f32_e32 v28, v28, v32
	v_fmac_f32_e32 v30, 0xbf5db3d7, v27
	ds_write_b32 v109, v4 offset:72
	s_waitcnt lgkmcnt(0)
	; wave barrier
	s_waitcnt lgkmcnt(0)
	ds_read_b32 v26, v14
	ds_read_b32 v25, v16
	;; [unrolled: 1-line block ×9, first 2 shown]
	ds_read2_b32 v[98:99], v52 offset0:55 offset1:118
	ds_read2_b32 v[2:3], v54 offset0:47 offset1:110
	;; [unrolled: 1-line block ×9, first 2 shown]
	s_waitcnt lgkmcnt(0)
	; wave barrier
	s_waitcnt lgkmcnt(0)
	ds_write2_b32 v51, v110, v111 offset1:9
	ds_write_b32 v51, v84 offset:72
	ds_write2_b32 v94, v49, v50 offset1:9
	ds_write_b32 v94, v86 offset:72
	ds_write2_b32 v95, v28, v30 offset1:9
	v_add_f32_e32 v28, v34, v36
	v_fmac_f32_e32 v87, 0x3f5db3d7, v27
	v_add_f32_e32 v27, v88, v34
	v_fmac_f32_e32 v88, -0.5, v28
	v_sub_f32_e32 v28, v29, v33
	v_mov_b32_e32 v29, v88
	v_add_f32_e32 v27, v27, v36
	v_fmac_f32_e32 v29, 0xbf5db3d7, v28
	v_fmac_f32_e32 v88, 0x3f5db3d7, v28
	v_add_f32_e32 v28, v38, v40
	ds_write_b32 v95, v87 offset:72
	ds_write2_b32 v96, v27, v29 offset1:9
	v_add_f32_e32 v27, v89, v38
	v_fmac_f32_e32 v89, -0.5, v28
	v_sub_f32_e32 v28, v39, v35
	v_mov_b32_e32 v29, v89
	v_add_f32_e32 v30, v42, v44
	v_fmac_f32_e32 v29, 0xbf5db3d7, v28
	v_fmac_f32_e32 v89, 0x3f5db3d7, v28
	v_add_f32_e32 v28, v90, v42
	v_fmac_f32_e32 v90, -0.5, v30
	v_sub_f32_e32 v30, v37, v41
	v_mov_b32_e32 v31, v90
	v_add_f32_e32 v32, v46, v48
	v_fmac_f32_e32 v31, 0xbf5db3d7, v30
	v_fmac_f32_e32 v90, 0x3f5db3d7, v30
	;; [unrolled: 7-line block ×4, first 2 shown]
	v_add_f32_e32 v34, v93, v83
	v_fmac_f32_e32 v93, -0.5, v36
	v_sub_f32_e32 v36, v80, v82
	v_mov_b32_e32 v37, v93
	v_add_f32_e32 v27, v27, v40
	v_add_f32_e32 v28, v28, v44
	;; [unrolled: 1-line block ×5, first 2 shown]
	v_fmac_f32_e32 v37, 0xbf5db3d7, v36
	v_fmac_f32_e32 v93, 0x3f5db3d7, v36
	ds_write_b32 v96, v88 offset:72
	ds_write2_b32 v97, v27, v29 offset1:9
	ds_write_b32 v97, v89 offset:72
	ds_write2_b32 v106, v28, v31 offset1:9
	;; [unrolled: 2-line block ×5, first 2 shown]
	ds_write_b32 v109, v93 offset:72
	v_mov_b32_e32 v31, 19
	v_mul_u32_u24_sdwa v51, v56, s0 dst_sel:DWORD dst_unused:UNUSED_PAD src0_sel:WORD_0 src1_sel:DWORD
	v_mul_lo_u16_sdwa v27, v66, v31 dst_sel:DWORD dst_unused:UNUSED_PAD src0_sel:BYTE_0 src1_sel:DWORD
	v_sub_u16_sdwa v78, v56, v51 dst_sel:DWORD dst_unused:UNUSED_PAD src0_sel:DWORD src1_sel:WORD_1
	v_lshrrev_b16_e32 v29, 9, v27
	v_lshrrev_b16_e32 v78, 1, v78
	v_mul_lo_u16_e32 v27, 27, v29
	v_add_u16_sdwa v51, v78, v51 dst_sel:DWORD dst_unused:UNUSED_PAD src0_sel:DWORD src1_sel:WORD_1
	v_sub_u16_e32 v30, v66, v27
	v_lshrrev_b16_e32 v51, 4, v51
	v_lshlrev_b32_sdwa v27, v13, v30 dst_sel:DWORD dst_unused:UNUSED_PAD src0_sel:DWORD src1_sel:BYTE_0
	v_mul_lo_u16_e32 v78, 27, v51
	s_waitcnt lgkmcnt(0)
	; wave barrier
	s_waitcnt lgkmcnt(0)
	global_load_dwordx4 v[35:38], v27, s[8:9] offset:192
	v_mul_u32_u24_sdwa v82, v57, s0 dst_sel:DWORD dst_unused:UNUSED_PAD src0_sel:WORD_0 src1_sel:DWORD
	v_sub_u16_e32 v110, v56, v78
	v_lshlrev_b32_e32 v78, 4, v110
	global_load_dwordx4 v[78:81], v78, s[8:9] offset:192
	v_sub_u16_sdwa v83, v57, v82 dst_sel:DWORD dst_unused:UNUSED_PAD src0_sel:DWORD src1_sel:WORD_1
	v_mul_lo_u16_sdwa v27, v70, v31 dst_sel:DWORD dst_unused:UNUSED_PAD src0_sel:BYTE_0 src1_sel:DWORD
	v_lshrrev_b16_e32 v83, 1, v83
	v_lshrrev_b16_e32 v27, 9, v27
	v_add_u16_sdwa v82, v83, v82 dst_sel:DWORD dst_unused:UNUSED_PAD src0_sel:DWORD src1_sel:WORD_1
	v_mul_lo_u16_e32 v28, 27, v27
	v_lshrrev_b16_e32 v111, 4, v82
	v_sub_u16_e32 v28, v70, v28
	v_mul_lo_u16_e32 v82, 27, v111
	v_lshlrev_b32_sdwa v32, v13, v28 dst_sel:DWORD dst_unused:UNUSED_PAD src0_sel:DWORD src1_sel:BYTE_0
	v_sub_u16_e32 v112, v57, v82
	global_load_dwordx4 v[39:42], v32, s[8:9] offset:192
	v_lshlrev_b32_e32 v82, 4, v112
	global_load_dwordx4 v[82:85], v82, s[8:9] offset:192
	v_mul_lo_u16_sdwa v32, v69, v31 dst_sel:DWORD dst_unused:UNUSED_PAD src0_sel:BYTE_0 src1_sel:DWORD
	v_mul_u32_u24_sdwa v86, v58, s0 dst_sel:DWORD dst_unused:UNUSED_PAD src0_sel:WORD_0 src1_sel:DWORD
	v_lshrrev_b16_e32 v33, 9, v32
	v_sub_u16_sdwa v87, v58, v86 dst_sel:DWORD dst_unused:UNUSED_PAD src0_sel:DWORD src1_sel:WORD_1
	v_mul_lo_u16_e32 v32, 27, v33
	v_lshrrev_b16_e32 v87, 1, v87
	v_sub_u16_e32 v34, v69, v32
	v_add_u16_sdwa v86, v87, v86 dst_sel:DWORD dst_unused:UNUSED_PAD src0_sel:DWORD src1_sel:WORD_1
	v_lshlrev_b32_sdwa v32, v13, v34 dst_sel:DWORD dst_unused:UNUSED_PAD src0_sel:DWORD src1_sel:BYTE_0
	v_lshrrev_b16_e32 v113, 4, v86
	global_load_dwordx4 v[43:46], v32, s[8:9] offset:192
	v_mul_lo_u16_e32 v86, 27, v113
	v_mul_lo_u16_sdwa v31, v67, v31 dst_sel:DWORD dst_unused:UNUSED_PAD src0_sel:BYTE_0 src1_sel:DWORD
	v_sub_u16_e32 v114, v58, v86
	v_lshrrev_b16_e32 v31, 9, v31
	v_lshlrev_b32_e32 v86, 4, v114
	global_load_dwordx4 v[86:89], v86, s[8:9] offset:192
	v_mul_lo_u16_e32 v32, 27, v31
	v_sub_u16_e32 v32, v67, v32
	v_lshlrev_b32_sdwa v47, v13, v32 dst_sel:DWORD dst_unused:UNUSED_PAD src0_sel:DWORD src1_sel:BYTE_0
	global_load_dwordx4 v[47:50], v47, s[8:9] offset:192
	v_mul_u32_u24_sdwa v90, v59, s0 dst_sel:DWORD dst_unused:UNUSED_PAD src0_sel:WORD_0 src1_sel:DWORD
	v_sub_u16_sdwa v91, v59, v90 dst_sel:DWORD dst_unused:UNUSED_PAD src0_sel:DWORD src1_sel:WORD_1
	v_lshrrev_b16_e32 v91, 1, v91
	v_mul_u32_u24_sdwa v94, v60, s0 dst_sel:DWORD dst_unused:UNUSED_PAD src0_sel:WORD_0 src1_sel:DWORD
	v_add_u16_sdwa v90, v91, v90 dst_sel:DWORD dst_unused:UNUSED_PAD src0_sel:DWORD src1_sel:WORD_1
	v_sub_u16_sdwa v95, v60, v94 dst_sel:DWORD dst_unused:UNUSED_PAD src0_sel:DWORD src1_sel:WORD_1
	v_lshrrev_b16_e32 v115, 4, v90
	v_lshrrev_b16_e32 v95, 1, v95
	v_mul_lo_u16_e32 v90, 27, v115
	v_add_u16_sdwa v94, v95, v94 dst_sel:DWORD dst_unused:UNUSED_PAD src0_sel:DWORD src1_sel:WORD_1
	v_sub_u16_e32 v116, v59, v90
	v_lshrrev_b16_e32 v117, 4, v94
	v_lshlrev_b32_e32 v90, 4, v116
	global_load_dwordx4 v[90:93], v90, s[8:9] offset:192
	v_mul_lo_u16_e32 v94, 27, v117
	v_sub_u16_e32 v118, v60, v94
	v_lshlrev_b32_e32 v94, 4, v118
	global_load_dwordx4 v[94:97], v94, s[8:9] offset:192
	ds_read2_b32 v[106:107], v52 offset0:55 offset1:118
	ds_read2_b32 v[108:109], v54 offset0:47 offset1:110
	s_waitcnt vmcnt(8) lgkmcnt(1)
	v_mul_f32_e32 v119, v106, v36
	v_fma_f32 v119, v98, v35, -v119
	v_mul_f32_e32 v98, v98, v36
	v_fmac_f32_e32 v98, v106, v35
	s_waitcnt lgkmcnt(0)
	v_mul_f32_e32 v35, v109, v38
	v_fma_f32 v106, v3, v37, -v35
	ds_read2_b32 v[35:36], v54 offset0:173 offset1:236
	v_mul_f32_e32 v3, v3, v38
	v_fmac_f32_e32 v3, v109, v37
	s_waitcnt vmcnt(6)
	v_mul_f32_e32 v37, v107, v40
	v_fma_f32 v120, v99, v39, -v37
	v_mul_f32_e32 v40, v99, v40
	s_waitcnt lgkmcnt(0)
	v_mul_f32_e32 v37, v35, v42
	v_fmac_f32_e32 v40, v107, v39
	v_fma_f32 v39, v100, v41, -v37
	ds_read2_b32 v[37:38], v52 offset0:181 offset1:244
	v_mul_f32_e32 v42, v100, v42
	v_fmac_f32_e32 v42, v35, v41
	s_waitcnt vmcnt(5)
	v_mul_f32_e32 v99, v8, v85
	s_waitcnt vmcnt(4)
	v_mul_f32_e32 v35, v36, v46
	v_fma_f32 v41, v101, v45, -v35
	v_mul_f32_e32 v46, v101, v46
	s_waitcnt lgkmcnt(0)
	v_mul_f32_e32 v35, v37, v44
	v_fmac_f32_e32 v46, v36, v45
	v_fma_f32 v45, v102, v43, -v35
	ds_read2_b32 v[35:36], v55 offset0:43 offset1:106
	v_mul_f32_e32 v44, v102, v44
	v_fmac_f32_e32 v44, v37, v43
	s_waitcnt vmcnt(3)
	v_mul_f32_e32 v101, v6, v87
	s_waitcnt vmcnt(2)
	v_mul_f32_e32 v37, v38, v48
	v_fma_f32 v43, v103, v47, -v37
	v_mul_f32_e32 v48, v103, v48
	s_waitcnt lgkmcnt(0)
	v_mul_f32_e32 v37, v35, v50
	v_fmac_f32_e32 v48, v38, v47
	v_fma_f32 v47, v104, v49, -v37
	ds_read2_b32 v[37:38], v61 offset0:51 offset1:114
	v_mul_f32_e32 v50, v104, v50
	v_fmac_f32_e32 v50, v35, v49
	v_mul_f32_e32 v35, v36, v81
	v_fma_f32 v49, v105, v80, -v35
	v_mul_f32_e32 v81, v105, v81
	s_waitcnt lgkmcnt(0)
	v_mul_f32_e32 v35, v37, v79
	v_fmac_f32_e32 v81, v36, v80
	v_fma_f32 v80, v10, v78, -v35
	ds_read2_b32 v[35:36], v55 offset0:169 offset1:232
	v_mul_f32_e32 v79, v10, v79
	v_mul_f32_e32 v10, v38, v83
	v_fmac_f32_e32 v79, v37, v78
	v_fma_f32 v78, v11, v82, -v10
	v_mul_f32_e32 v83, v11, v83
	s_waitcnt lgkmcnt(0)
	v_mul_f32_e32 v10, v35, v85
	v_fmac_f32_e32 v83, v38, v82
	v_fma_f32 v82, v8, v84, -v10
	ds_read2_b32 v[10:11], v61 offset0:177 offset1:240
	v_mul_f32_e32 v8, v36, v89
	v_fmac_f32_e32 v99, v35, v84
	v_fma_f32 v84, v9, v88, -v8
	v_mul_f32_e32 v89, v9, v89
	s_waitcnt lgkmcnt(0)
	v_mul_f32_e32 v8, v10, v87
	v_fma_f32 v100, v6, v86, -v8
	ds_read2_b32 v[8:9], v77 offset0:39 offset1:102
	s_waitcnt vmcnt(1)
	v_mul_f32_e32 v6, v11, v91
	v_fma_f32 v102, v7, v90, -v6
	v_mul_f32_e32 v91, v7, v91
	v_fmac_f32_e32 v91, v11, v90
	s_waitcnt lgkmcnt(0)
	v_mul_f32_e32 v6, v8, v93
	v_fma_f32 v90, v4, v92, -v6
	v_mul_f32_e32 v93, v4, v93
	s_waitcnt vmcnt(0)
	v_mul_f32_e32 v4, v108, v95
	v_fmac_f32_e32 v93, v8, v92
	v_fma_f32 v92, v2, v94, -v4
	v_mul_f32_e32 v95, v2, v95
	v_mul_f32_e32 v2, v9, v97
	v_add_f32_e32 v4, v119, v106
	v_fmac_f32_e32 v95, v108, v94
	v_fma_f32 v94, v5, v96, -v2
	v_mul_f32_e32 v97, v5, v97
	v_add_f32_e32 v2, v26, v119
	v_fmac_f32_e32 v26, -0.5, v4
	v_mul_u32_u24_e32 v4, 0x144, v29
	v_lshlrev_b32_sdwa v5, v15, v30 dst_sel:DWORD dst_unused:UNUSED_PAD src0_sel:DWORD src1_sel:BYTE_0
	v_add3_u32 v29, 0, v4, v5
	v_sub_f32_e32 v4, v98, v3
	v_mov_b32_e32 v5, v26
	v_add_f32_e32 v2, v2, v106
	v_fmac_f32_e32 v5, 0x3f5db3d7, v4
	v_fmac_f32_e32 v26, 0xbf5db3d7, v4
	v_add_f32_e32 v4, v120, v39
	v_fmac_f32_e32 v97, v9, v96
	ds_read_b32 v30, v14
	ds_read_b32 v96, v16
	;; [unrolled: 1-line block ×9, first 2 shown]
	s_waitcnt lgkmcnt(0)
	; wave barrier
	s_waitcnt lgkmcnt(0)
	ds_write2_b32 v29, v2, v5 offset1:27
	v_add_f32_e32 v2, v25, v120
	v_fmac_f32_e32 v25, -0.5, v4
	v_mul_u32_u24_e32 v4, 0x144, v27
	v_lshlrev_b32_sdwa v5, v15, v28 dst_sel:DWORD dst_unused:UNUSED_PAD src0_sel:DWORD src1_sel:BYTE_0
	ds_write_b32 v29, v26 offset:216
	v_add3_u32 v26, 0, v4, v5
	v_sub_f32_e32 v4, v40, v42
	v_mov_b32_e32 v5, v25
	v_add_f32_e32 v2, v2, v39
	v_fmac_f32_e32 v5, 0x3f5db3d7, v4
	v_fmac_f32_e32 v25, 0xbf5db3d7, v4
	v_add_f32_e32 v4, v45, v41
	ds_write2_b32 v26, v2, v5 offset1:27
	v_add_f32_e32 v2, v24, v45
	v_fmac_f32_e32 v24, -0.5, v4
	v_mul_u32_u24_e32 v4, 0x144, v33
	v_lshlrev_b32_sdwa v5, v15, v34 dst_sel:DWORD dst_unused:UNUSED_PAD src0_sel:DWORD src1_sel:BYTE_0
	ds_write_b32 v26, v25 offset:216
	v_add3_u32 v25, 0, v4, v5
	v_sub_f32_e32 v4, v44, v46
	v_mov_b32_e32 v5, v24
	v_add_f32_e32 v2, v2, v41
	v_fmac_f32_e32 v5, 0x3f5db3d7, v4
	v_fmac_f32_e32 v24, 0xbf5db3d7, v4
	v_add_f32_e32 v4, v43, v47
	;; [unrolled: 13-line block ×3, first 2 shown]
	ds_write2_b32 v24, v2, v5 offset1:27
	v_add_f32_e32 v2, v22, v80
	v_fmac_f32_e32 v22, -0.5, v4
	v_mul_u32_u24_e32 v4, 0x144, v51
	v_lshlrev_b32_e32 v5, 2, v110
	ds_write_b32 v24, v23 offset:216
	v_add3_u32 v23, 0, v4, v5
	v_sub_f32_e32 v4, v79, v81
	v_mov_b32_e32 v5, v22
	v_add_f32_e32 v2, v2, v49
	v_fmac_f32_e32 v5, 0x3f5db3d7, v4
	v_fmac_f32_e32 v22, 0xbf5db3d7, v4
	v_add_f32_e32 v4, v78, v82
	ds_write2_b32 v23, v2, v5 offset1:27
	v_add_f32_e32 v2, v21, v78
	v_fmac_f32_e32 v21, -0.5, v4
	v_mul_u32_u24_e32 v4, 0x144, v111
	v_lshlrev_b32_e32 v5, 2, v112
	ds_write_b32 v23, v22 offset:216
	v_add3_u32 v22, 0, v4, v5
	v_sub_f32_e32 v4, v83, v99
	v_mov_b32_e32 v5, v21
	v_add_f32_e32 v2, v2, v82
	v_fmac_f32_e32 v5, 0x3f5db3d7, v4
	v_fmac_f32_e32 v21, 0xbf5db3d7, v4
	v_add_f32_e32 v4, v100, v84
	v_fmac_f32_e32 v89, v36, v88
	v_fmac_f32_e32 v101, v10, v86
	ds_write2_b32 v22, v2, v5 offset1:27
	v_add_f32_e32 v2, v20, v100
	v_fmac_f32_e32 v20, -0.5, v4
	v_mul_u32_u24_e32 v4, 0x144, v113
	v_lshlrev_b32_e32 v5, 2, v114
	ds_write_b32 v22, v21 offset:216
	v_add3_u32 v21, 0, v4, v5
	v_sub_f32_e32 v4, v101, v89
	v_mov_b32_e32 v5, v20
	v_add_f32_e32 v2, v2, v84
	v_fmac_f32_e32 v5, 0x3f5db3d7, v4
	v_fmac_f32_e32 v20, 0xbf5db3d7, v4
	v_add_f32_e32 v4, v102, v90
	ds_write2_b32 v21, v2, v5 offset1:27
	v_add_f32_e32 v2, v19, v102
	v_fmac_f32_e32 v19, -0.5, v4
	v_mul_u32_u24_e32 v4, 0x144, v115
	v_lshlrev_b32_e32 v5, 2, v116
	v_add3_u32 v27, 0, v4, v5
	v_sub_f32_e32 v4, v91, v93
	v_mov_b32_e32 v5, v19
	v_add_f32_e32 v2, v2, v90
	v_fmac_f32_e32 v5, 0x3f5db3d7, v4
	v_fmac_f32_e32 v19, 0xbf5db3d7, v4
	v_add_f32_e32 v4, v92, v94
	ds_write_b32 v21, v20 offset:216
	ds_write2_b32 v27, v2, v5 offset1:27
	v_add_f32_e32 v2, v17, v92
	v_fmac_f32_e32 v17, -0.5, v4
	v_mul_u32_u24_e32 v4, 0x144, v117
	v_lshlrev_b32_e32 v5, 2, v118
	v_add3_u32 v28, 0, v4, v5
	v_sub_f32_e32 v4, v95, v97
	v_mov_b32_e32 v5, v17
	v_add_f32_e32 v2, v2, v94
	v_fmac_f32_e32 v5, 0x3f5db3d7, v4
	ds_write_b32 v27, v19 offset:216
	ds_write2_b32 v28, v2, v5 offset1:27
	v_add_f32_e32 v2, v30, v98
	v_add_f32_e32 v31, v2, v3
	;; [unrolled: 1-line block ×3, first 2 shown]
	v_fmac_f32_e32 v30, -0.5, v2
	v_sub_f32_e32 v32, v119, v106
	v_fmac_f32_e32 v17, 0xbf5db3d7, v4
	v_mov_b32_e32 v51, v30
	v_fmac_f32_e32 v30, 0x3f5db3d7, v32
	ds_write_b32 v28, v17 offset:216
	v_fmac_f32_e32 v51, 0xbf5db3d7, v32
	s_waitcnt lgkmcnt(0)
	; wave barrier
	s_waitcnt lgkmcnt(0)
	ds_read2_b32 v[33:34], v52 offset0:55 offset1:118
	ds_read2_b32 v[5:6], v54 offset0:47 offset1:110
	;; [unrolled: 1-line block ×8, first 2 shown]
	ds_read_b32 v20, v14
	ds_read_b32 v19, v16
	;; [unrolled: 1-line block ×8, first 2 shown]
	ds_read2_b32 v[7:8], v77 offset0:39 offset1:102
	ds_read_b32 v4, v75
	s_waitcnt lgkmcnt(0)
	; wave barrier
	s_waitcnt lgkmcnt(0)
	ds_write_b32 v29, v30 offset:216
	v_add_f32_e32 v30, v40, v42
	ds_write2_b32 v29, v31, v51 offset1:27
	v_add_f32_e32 v29, v96, v40
	v_fmac_f32_e32 v96, -0.5, v30
	v_sub_f32_e32 v30, v120, v39
	v_mov_b32_e32 v31, v96
	v_add_f32_e32 v29, v29, v42
	v_fmac_f32_e32 v31, 0xbf5db3d7, v30
	ds_write2_b32 v26, v29, v31 offset1:27
	v_fmac_f32_e32 v96, 0x3f5db3d7, v30
	v_add_f32_e32 v29, v44, v46
	ds_write_b32 v26, v96 offset:216
	v_add_f32_e32 v26, v103, v44
	v_fmac_f32_e32 v103, -0.5, v29
	v_sub_f32_e32 v29, v45, v41
	v_mov_b32_e32 v30, v103
	v_add_f32_e32 v26, v26, v46
	v_fmac_f32_e32 v30, 0xbf5db3d7, v29
	ds_write2_b32 v25, v26, v30 offset1:27
	v_fmac_f32_e32 v103, 0x3f5db3d7, v29
	v_add_f32_e32 v26, v48, v50
	ds_write_b32 v25, v103 offset:216
	v_add_f32_e32 v25, v104, v48
	v_fmac_f32_e32 v104, -0.5, v26
	v_sub_f32_e32 v26, v43, v47
	v_mov_b32_e32 v29, v104
	v_add_f32_e32 v25, v25, v50
	v_fmac_f32_e32 v29, 0xbf5db3d7, v26
	ds_write2_b32 v24, v25, v29 offset1:27
	v_fmac_f32_e32 v104, 0x3f5db3d7, v26
	v_add_f32_e32 v25, v79, v81
	ds_write_b32 v24, v104 offset:216
	v_add_f32_e32 v24, v105, v79
	v_fmac_f32_e32 v105, -0.5, v25
	v_sub_f32_e32 v25, v80, v49
	v_mov_b32_e32 v26, v105
	v_add_f32_e32 v29, v83, v99
	v_fmac_f32_e32 v26, 0xbf5db3d7, v25
	v_fmac_f32_e32 v105, 0x3f5db3d7, v25
	v_add_f32_e32 v25, v121, v83
	v_fmac_f32_e32 v121, -0.5, v29
	v_sub_f32_e32 v29, v78, v82
	v_mov_b32_e32 v30, v121
	v_add_f32_e32 v31, v101, v89
	v_fmac_f32_e32 v30, 0xbf5db3d7, v29
	v_fmac_f32_e32 v121, 0x3f5db3d7, v29
	;; [unrolled: 7-line block ×4, first 2 shown]
	v_add_f32_e32 v39, v124, v95
	v_fmac_f32_e32 v124, -0.5, v41
	v_add_f32_e32 v24, v24, v81
	v_add_f32_e32 v25, v25, v99
	v_sub_f32_e32 v41, v92, v94
	v_mov_b32_e32 v42, v124
	v_add_f32_e32 v29, v29, v89
	v_add_f32_e32 v31, v31, v93
	v_add_f32_e32 v39, v39, v97
	v_fmac_f32_e32 v42, 0xbf5db3d7, v41
	v_fmac_f32_e32 v124, 0x3f5db3d7, v41
	ds_write2_b32 v23, v24, v26 offset1:27
	ds_write_b32 v23, v105 offset:216
	ds_write2_b32 v22, v25, v30 offset1:27
	ds_write_b32 v22, v121 offset:216
	;; [unrolled: 2-line block ×5, first 2 shown]
	v_lshlrev_b32_e32 v25, 1, v66
	v_mov_b32_e32 v26, 0
	v_lshlrev_b64 v[21:22], 3, v[25:26]
	v_mov_b32_e32 v27, s9
	v_add_co_u32_e64 v21, s[0:1], s8, v21
	v_addc_co_u32_e64 v22, s[0:1], v27, v22, s[0:1]
	v_subrev_u32_e32 v25, 18, v66
	v_cmp_gt_u32_e64 s[0:1], 18, v66
	v_cndmask_b32_e64 v111, v25, v70, s[0:1]
	v_lshlrev_b32_e32 v25, 1, v111
	v_lshlrev_b64 v[25:26], 3, v[25:26]
	s_waitcnt lgkmcnt(0)
	v_add_co_u32_e64 v25, s[0:1], s8, v25
	v_addc_co_u32_e64 v26, s[0:1], v27, v26, s[0:1]
	s_movk_i32 s0, 0xcb
	v_mul_lo_u16_sdwa v29, v69, s0 dst_sel:DWORD dst_unused:UNUSED_PAD src0_sel:BYTE_0 src1_sel:DWORD
	v_mul_lo_u16_sdwa v39, v67, s0 dst_sel:DWORD dst_unused:UNUSED_PAD src0_sel:BYTE_0 src1_sel:DWORD
	v_lshrrev_b16_e32 v112, 14, v29
	v_lshrrev_b16_e32 v114, 14, v39
	v_mul_lo_u16_e32 v29, 0x51, v112
	v_mul_lo_u16_e32 v39, 0x51, v114
	v_sub_u16_e32 v113, v69, v29
	v_sub_u16_e32 v115, v67, v39
	v_lshlrev_b32_sdwa v29, v13, v113 dst_sel:DWORD dst_unused:UNUSED_PAD src0_sel:DWORD src1_sel:BYTE_0
	v_lshlrev_b32_sdwa v13, v13, v115 dst_sel:DWORD dst_unused:UNUSED_PAD src0_sel:DWORD src1_sel:BYTE_0
	s_movk_i32 s0, 0x6523
	; wave barrier
	global_load_dwordx4 v[29:32], v29, s[8:9] offset:624
	s_nop 0
	global_load_dwordx4 v[41:44], v13, s[8:9] offset:624
	v_mul_u32_u24_sdwa v13, v56, s0 dst_sel:DWORD dst_unused:UNUSED_PAD src0_sel:WORD_0 src1_sel:DWORD
	v_lshrrev_b32_e32 v13, 21, v13
	v_mul_lo_u16_e32 v13, 0x51, v13
	global_load_dwordx4 v[21:24], v[21:22], off offset:624
	v_sub_u16_e32 v116, v56, v13
	v_lshlrev_b32_e32 v13, 4, v116
	global_load_dwordx4 v[47:50], v13, s[8:9] offset:624
	v_mul_u32_u24_sdwa v13, v57, s0 dst_sel:DWORD dst_unused:UNUSED_PAD src0_sel:WORD_0 src1_sel:DWORD
	global_load_dwordx4 v[25:28], v[25:26], off offset:624
	v_lshrrev_b32_e32 v117, 21, v13
	v_mul_lo_u16_e32 v13, 0x51, v117
	v_sub_u16_e32 v118, v57, v13
	v_lshlrev_b32_e32 v13, 4, v118
	global_load_dwordx4 v[95:98], v13, s[8:9] offset:624
	v_mul_u32_u24_sdwa v13, v58, s0 dst_sel:DWORD dst_unused:UNUSED_PAD src0_sel:WORD_0 src1_sel:DWORD
	v_lshrrev_b32_e32 v119, 21, v13
	v_mul_lo_u16_e32 v13, 0x51, v119
	v_sub_u16_e32 v120, v58, v13
	v_lshlrev_b32_e32 v13, 4, v120
	global_load_dwordx4 v[99:102], v13, s[8:9] offset:624
	v_mul_u32_u24_sdwa v13, v59, s0 dst_sel:DWORD dst_unused:UNUSED_PAD src0_sel:WORD_0 src1_sel:DWORD
	v_lshrrev_b32_e32 v121, 21, v13
	v_mul_lo_u16_e32 v13, 0x51, v121
	v_sub_u16_e32 v122, v59, v13
	v_lshlrev_b32_e32 v13, 4, v122
	global_load_dwordx4 v[56:59], v13, s[8:9] offset:624
	v_mul_u32_u24_sdwa v13, v60, s0 dst_sel:DWORD dst_unused:UNUSED_PAD src0_sel:WORD_0 src1_sel:DWORD
	v_lshrrev_b32_e32 v13, 21, v13
	v_mul_lo_u16_e32 v13, 0x51, v13
	v_sub_u16_e32 v123, v60, v13
	v_lshlrev_b32_e32 v13, 4, v123
	global_load_dwordx4 v[103:106], v13, s[8:9] offset:624
	ds_read2_b32 v[39:40], v52 offset0:55 offset1:118
	ds_read2_b32 v[45:46], v54 offset0:47 offset1:110
	;; [unrolled: 1-line block ×3, first 2 shown]
	v_cmp_lt_u32_e64 s[0:1], 17, v66
	s_waitcnt vmcnt(8)
	v_mul_f32_e32 v92, v37, v30
	v_mul_f32_e32 v81, v36, v32
	s_waitcnt lgkmcnt(0)
	v_fmac_f32_e32 v81, v79, v31
	s_waitcnt vmcnt(7)
	v_mul_f32_e32 v91, v85, v44
	s_waitcnt vmcnt(6)
	v_mul_f32_e32 v13, v39, v22
	v_mul_f32_e32 v89, v33, v22
	v_fma_f32 v60, v33, v21, -v13
	v_fmac_f32_e32 v89, v39, v21
	ds_read2_b32 v[21:22], v52 offset0:181 offset1:244
	v_mul_f32_e32 v13, v46, v24
	v_mul_f32_e32 v94, v6, v24
	v_fma_f32 v90, v6, v23, -v13
	v_fmac_f32_e32 v94, v46, v23
	s_waitcnt vmcnt(4)
	v_mul_f32_e32 v6, v40, v26
	ds_read2_b32 v[23:24], v55 offset0:43 offset1:106
	v_fma_f32 v46, v34, v25, -v6
	v_mul_f32_e32 v6, v78, v28
	v_mul_f32_e32 v83, v34, v26
	v_fma_f32 v84, v35, v27, -v6
	v_mul_f32_e32 v6, v79, v32
	v_fmac_f32_e32 v83, v40, v25
	v_mul_f32_e32 v93, v35, v28
	v_fma_f32 v40, v36, v31, -v6
	s_waitcnt lgkmcnt(1)
	v_mul_f32_e32 v6, v21, v30
	v_fmac_f32_e32 v93, v78, v27
	v_fma_f32 v80, v37, v29, -v6
	v_mul_f32_e32 v6, v22, v42
	v_mul_f32_e32 v78, v38, v42
	v_fmac_f32_e32 v92, v21, v29
	v_fma_f32 v36, v38, v41, -v6
	v_fmac_f32_e32 v78, v22, v41
	s_waitcnt lgkmcnt(0)
	v_mul_f32_e32 v6, v23, v44
	ds_read2_b32 v[21:22], v61 offset0:51 offset1:114
	v_fma_f32 v79, v85, v43, -v6
	v_mul_f32_e32 v6, v24, v50
	v_mul_f32_e32 v50, v86, v50
	v_fmac_f32_e32 v91, v23, v43
	v_fmac_f32_e32 v50, v24, v49
	ds_read2_b32 v[23:24], v55 offset0:169 offset1:232
	v_fma_f32 v33, v86, v49, -v6
	s_waitcnt lgkmcnt(1)
	v_mul_f32_e32 v6, v21, v48
	v_fma_f32 v49, v87, v47, -v6
	s_waitcnt vmcnt(3)
	v_mul_f32_e32 v6, v22, v96
	v_fma_f32 v29, v88, v95, -v6
	s_waitcnt lgkmcnt(0)
	v_mul_f32_e32 v6, v23, v98
	v_mul_f32_e32 v85, v107, v98
	s_waitcnt vmcnt(2)
	v_mul_f32_e32 v44, v108, v102
	v_mul_f32_e32 v87, v87, v48
	v_fma_f32 v48, v107, v97, -v6
	v_fmac_f32_e32 v85, v23, v97
	v_mul_f32_e32 v6, v24, v102
	v_fmac_f32_e32 v44, v24, v101
	ds_read2_b32 v[23:24], v77 offset0:39 offset1:102
	v_fmac_f32_e32 v87, v21, v47
	v_mul_f32_e32 v47, v88, v96
	v_fmac_f32_e32 v47, v22, v95
	ds_read2_b32 v[21:22], v61 offset0:177 offset1:240
	s_waitcnt vmcnt(1) lgkmcnt(1)
	v_mul_f32_e32 v13, v23, v59
	v_fma_f32 v38, v7, v58, -v13
	v_mul_f32_e32 v77, v7, v59
	s_waitcnt vmcnt(0)
	v_mul_f32_e32 v7, v45, v104
	v_mul_f32_e32 v82, v109, v100
	v_fma_f32 v13, v5, v103, -v7
	v_mul_f32_e32 v32, v5, v104
	v_mul_f32_e32 v5, v24, v106
	v_add_f32_e32 v7, v60, v90
	v_fma_f32 v28, v108, v101, -v6
	s_waitcnt lgkmcnt(0)
	v_mul_f32_e32 v6, v21, v100
	v_fmac_f32_e32 v82, v21, v99
	v_mul_f32_e32 v37, v110, v57
	v_fma_f32 v34, v8, v105, -v5
	v_add_f32_e32 v5, v20, v60
	v_fmac_f32_e32 v20, -0.5, v7
	v_sub_f32_e32 v21, v89, v94
	v_fma_f32 v41, v109, v99, -v6
	v_mul_f32_e32 v6, v22, v57
	v_fmac_f32_e32 v37, v22, v56
	v_mov_b32_e32 v22, v20
	v_fmac_f32_e32 v20, 0xbf5db3d7, v21
	v_fmac_f32_e32 v32, v45, v103
	v_mul_f32_e32 v51, v8, v106
	v_add_f32_e32 v5, v5, v90
	v_fmac_f32_e32 v22, 0x3f5db3d7, v21
	ds_read_b32 v88, v14
	ds_read_b32 v86, v16
	;; [unrolled: 1-line block ×9, first 2 shown]
	s_waitcnt lgkmcnt(0)
	; wave barrier
	s_waitcnt lgkmcnt(0)
	v_add_f32_e32 v21, v46, v84
	ds_write_b32 v14, v20 offset:648
	v_mov_b32_e32 v20, 0x3cc
	ds_write2_b32 v14, v5, v22 offset1:81
	v_add_f32_e32 v5, v19, v46
	v_fmac_f32_e32 v19, -0.5, v21
	v_cndmask_b32_e64 v20, 0, v20, s[0:1]
	v_lshlrev_b32_e32 v21, 2, v111
	v_add3_u32 v95, 0, v20, v21
	v_sub_f32_e32 v20, v83, v93
	v_mov_b32_e32 v21, v19
	v_add_f32_e32 v5, v5, v84
	v_fmac_f32_e32 v21, 0x3f5db3d7, v20
	v_fmac_f32_e32 v19, 0xbf5db3d7, v20
	v_add_f32_e32 v20, v80, v40
	ds_write2_b32 v95, v5, v21 offset1:81
	v_add_f32_e32 v5, v17, v80
	v_fmac_f32_e32 v17, -0.5, v20
	ds_write_b32 v95, v19 offset:648
	v_mul_u32_u24_e32 v19, 0x3cc, v112
	v_lshlrev_b32_sdwa v20, v15, v113 dst_sel:DWORD dst_unused:UNUSED_PAD src0_sel:DWORD src1_sel:BYTE_0
	v_add3_u32 v96, 0, v19, v20
	v_sub_f32_e32 v19, v92, v81
	v_mov_b32_e32 v20, v17
	v_add_f32_e32 v5, v5, v40
	v_fmac_f32_e32 v20, 0x3f5db3d7, v19
	v_fmac_f32_e32 v17, 0xbf5db3d7, v19
	v_add_f32_e32 v19, v36, v79
	ds_write2_b32 v96, v5, v20 offset1:81
	v_add_f32_e32 v5, v11, v36
	v_fmac_f32_e32 v11, -0.5, v19
	ds_write_b32 v96, v17 offset:648
	v_lshlrev_b32_sdwa v15, v15, v115 dst_sel:DWORD dst_unused:UNUSED_PAD src0_sel:DWORD src1_sel:BYTE_0
	v_mul_u32_u24_e32 v17, 0x3cc, v114
	v_add3_u32 v15, 0, v17, v15
	v_sub_f32_e32 v17, v78, v91
	v_mov_b32_e32 v19, v11
	v_add_f32_e32 v5, v5, v79
	v_fmac_f32_e32 v19, 0x3f5db3d7, v17
	v_fmac_f32_e32 v11, 0xbf5db3d7, v17
	v_add_f32_e32 v17, v49, v33
	ds_write2_b32 v15, v5, v19 offset1:81
	v_add_f32_e32 v5, v10, v49
	v_fmac_f32_e32 v10, -0.5, v17
	ds_write_b32 v15, v11 offset:648
	v_sub_f32_e32 v11, v87, v50
	v_mov_b32_e32 v17, v10
	v_lshl_add_u32 v97, v116, 2, 0
	v_add_f32_e32 v5, v5, v33
	v_fmac_f32_e32 v17, 0x3f5db3d7, v11
	v_add_u32_e32 v98, 0xa00, v97
	v_fmac_f32_e32 v10, 0xbf5db3d7, v11
	v_add_f32_e32 v11, v29, v48
	ds_write2_b32 v98, v5, v17 offset0:89 offset1:170
	v_add_f32_e32 v5, v2, v29
	v_fmac_f32_e32 v2, -0.5, v11
	ds_write_b32 v97, v10 offset:3564
	v_mul_u32_u24_e32 v10, 0x3cc, v117
	v_lshlrev_b32_e32 v11, 2, v118
	v_add3_u32 v99, 0, v10, v11
	v_sub_f32_e32 v10, v47, v85
	v_mov_b32_e32 v11, v2
	v_add_f32_e32 v5, v5, v48
	v_fmac_f32_e32 v11, 0x3f5db3d7, v10
	v_fmac_f32_e32 v2, 0xbf5db3d7, v10
	v_add_f32_e32 v10, v41, v28
	ds_write2_b32 v99, v5, v11 offset1:81
	v_add_f32_e32 v5, v9, v41
	v_fmac_f32_e32 v9, -0.5, v10
	ds_write_b32 v99, v2 offset:648
	v_mul_u32_u24_e32 v2, 0x3cc, v119
	v_lshlrev_b32_e32 v10, 2, v120
	v_add3_u32 v100, 0, v2, v10
	v_add_f32_e32 v2, v5, v28
	v_sub_f32_e32 v5, v82, v44
	v_mov_b32_e32 v10, v9
	v_fma_f32 v6, v110, v56, -v6
	v_fmac_f32_e32 v10, 0x3f5db3d7, v5
	ds_write2_b32 v100, v2, v10 offset1:81
	v_add_f32_e32 v2, v6, v38
	v_fmac_f32_e32 v77, v23, v58
	v_fmac_f32_e32 v9, 0xbf5db3d7, v5
	v_add_f32_e32 v5, v3, v6
	v_fmac_f32_e32 v3, -0.5, v2
	v_mov_b32_e32 v2, v3
	v_sub_f32_e32 v10, v37, v77
	v_add_f32_e32 v11, v13, v34
	v_fmac_f32_e32 v51, v24, v105
	v_fmac_f32_e32 v2, 0x3f5db3d7, v10
	;; [unrolled: 1-line block ×3, first 2 shown]
	v_add_f32_e32 v10, v4, v13
	v_fmac_f32_e32 v4, -0.5, v11
	v_mov_b32_e32 v11, v4
	v_sub_f32_e32 v17, v32, v51
	v_fmac_f32_e32 v11, 0x3f5db3d7, v17
	v_fmac_f32_e32 v4, 0xbf5db3d7, v17
	ds_write_b32 v100, v9 offset:648
	v_mul_u32_u24_e32 v9, 0x3cc, v121
	v_lshlrev_b32_e32 v17, 2, v122
	v_add3_u32 v101, 0, v9, v17
	v_sub_u32_e32 v9, 0, v64
	v_lshl_add_u32 v64, v123, 2, 0
	v_add_f32_e32 v10, v10, v34
	v_add_f32_e32 v72, v5, v38
	v_add_u32_e32 v105, 0x1600, v64
	ds_write2_b32 v101, v72, v2 offset1:81
	ds_write_b32 v101, v3 offset:648
	ds_write2_b32 v105, v10, v11 offset0:50 offset1:131
	ds_write_b32 v64, v4 offset:6480
	s_waitcnt lgkmcnt(0)
	; wave barrier
	s_waitcnt lgkmcnt(0)
	v_add_u32_e32 v107, 0x600, v14
	v_add_u32_e32 v106, 0xe00, v14
	;; [unrolled: 1-line block ×4, first 2 shown]
	ds_read_b32 v19, v63
	ds_read_b32 v74, v16
	ds_read_b32 v75, v14 offset:6336
	ds_read2_b32 v[16:17], v14 offset1:243
	ds_read2_b32 v[20:21], v107 offset0:102 offset1:165
	ds_read2_b32 v[26:27], v52 offset0:100 offset1:217
	;; [unrolled: 1-line block ×8, first 2 shown]
	v_sub_u32_e32 v5, 0, v62
	v_sub_u32_e32 v108, 0, v12
	v_add_u32_e32 v102, v53, v5
	v_cmp_gt_u32_e64 s[0:1], 54, v66
	s_and_saveexec_b64 s[4:5], s[0:1]
	s_cbranch_execz .LBB0_15
; %bb.14:
	v_add_u32_e32 v4, 0xe40, v14
	v_add_u32_e32 v2, 0x6c0, v14
	ds_read2_b32 v[10:11], v4 offset0:6 offset1:249
	v_add_u32_e32 v4, 0x15c0, v14
	ds_read_b32 v72, v102
	ds_read2_b32 v[2:3], v2 offset1:243
	ds_read2_b32 v[4:5], v4 offset0:12 offset1:255
.LBB0_15:
	s_or_b64 exec, exec, s[4:5]
	v_add_f32_e32 v12, v88, v89
	v_add_f32_e32 v53, v12, v94
	v_add_f32_e32 v12, v89, v94
	v_fmac_f32_e32 v88, -0.5, v12
	v_sub_f32_e32 v12, v60, v90
	v_mov_b32_e32 v60, v88
	v_fmac_f32_e32 v60, 0xbf5db3d7, v12
	v_fmac_f32_e32 v88, 0x3f5db3d7, v12
	v_add_f32_e32 v12, v86, v83
	v_add_f32_e32 v62, v12, v93
	v_add_f32_e32 v12, v83, v93
	v_fmac_f32_e32 v86, -0.5, v12
	v_sub_f32_e32 v12, v46, v84
	v_mov_b32_e32 v46, v86
	v_fmac_f32_e32 v46, 0xbf5db3d7, v12
	v_fmac_f32_e32 v86, 0x3f5db3d7, v12
	;; [unrolled: 8-line block ×8, first 2 shown]
	v_add_f32_e32 v12, v8, v32
	v_add_f32_e32 v32, v32, v51
	v_fmac_f32_e32 v8, -0.5, v32
	v_sub_f32_e32 v32, v13, v34
	v_mov_b32_e32 v13, v8
	v_add_f32_e32 v12, v12, v51
	v_fmac_f32_e32 v13, 0xbf5db3d7, v32
	v_fmac_f32_e32 v8, 0x3f5db3d7, v32
	s_waitcnt lgkmcnt(0)
	; wave barrier
	s_waitcnt lgkmcnt(0)
	ds_write2_b32 v14, v53, v60 offset1:81
	ds_write_b32 v14, v88 offset:648
	ds_write2_b32 v95, v62, v46 offset1:81
	ds_write_b32 v95, v86 offset:648
	ds_write2_b32 v96, v63, v40 offset1:81
	ds_write_b32 v96, v76 offset:648
	ds_write2_b32 v15, v80, v36 offset1:81
	ds_write_b32 v15, v65 offset:648
	ds_write2_b32 v98, v78, v33 offset0:89 offset1:170
	ds_write_b32 v97, v45 offset:3564
	ds_write2_b32 v99, v49, v29 offset1:81
	ds_write_b32 v99, v39 offset:648
	ds_write2_b32 v100, v47, v28 offset1:81
	;; [unrolled: 2-line block ×3, first 2 shown]
	ds_write_b32 v101, v7 offset:648
	ds_write2_b32 v105, v12, v13 offset0:50 offset1:131
	ds_write_b32 v64, v8 offset:6480
	s_waitcnt lgkmcnt(0)
	; wave barrier
	s_waitcnt lgkmcnt(0)
	ds_read2_b32 v[44:45], v14 offset1:243
	ds_read2_b32 v[46:47], v107 offset0:102 offset1:165
	ds_read2_b32 v[52:53], v52 offset0:100 offset1:217
	;; [unrolled: 1-line block ×5, first 2 shown]
	v_add_u32_e32 v15, v71, v108
	v_add_u32_e32 v9, v18, v9
	ds_read2_b32 v[64:65], v104 offset0:50 offset1:113
	ds_read2_b32 v[62:63], v61 offset0:24 offset1:87
	;; [unrolled: 1-line block ×3, first 2 shown]
	ds_read_b32 v18, v15
	ds_read_b32 v71, v9
	ds_read_b32 v28, v14 offset:6336
	s_and_saveexec_b64 s[4:5], s[0:1]
	s_cbranch_execz .LBB0_17
; %bb.16:
	v_add_u32_e32 v8, 0xe40, v14
	v_add_u32_e32 v6, 0x6c0, v14
	ds_read2_b32 v[12:13], v8 offset0:6 offset1:249
	v_add_u32_e32 v8, 0x15c0, v14
	ds_read_b32 v73, v102
	ds_read2_b32 v[6:7], v6 offset1:243
	ds_read2_b32 v[8:9], v8 offset0:12 offset1:255
.LBB0_17:
	s_or_b64 exec, exec, s[4:5]
	s_and_saveexec_b64 s[4:5], vcc
	s_cbranch_execz .LBB0_20
; %bb.18:
	v_mul_i32_i24_e32 v14, 6, v69
	v_mov_b32_e32 v15, 0
	v_lshlrev_b64 v[32:33], 3, v[14:15]
	v_mov_b32_e32 v29, s9
	v_add_co_u32_e32 v40, vcc, s8, v32
	v_addc_co_u32_e32 v41, vcc, v29, v33, vcc
	global_load_dwordx4 v[32:35], v[40:41], off offset:1920
	global_load_dwordx4 v[36:39], v[40:41], off offset:1952
	;; [unrolled: 1-line block ×3, first 2 shown]
	v_mul_i32_i24_e32 v14, 6, v70
	v_lshlrev_b64 v[40:41], 3, v[14:15]
	s_mov_b32 s4, 0xbeae86e6
	v_add_co_u32_e32 v40, vcc, s8, v40
	v_addc_co_u32_e32 v41, vcc, v29, v41, vcc
	global_load_dwordx4 v[80:83], v[40:41], off offset:1920
	global_load_dwordx4 v[84:87], v[40:41], off offset:1952
	;; [unrolled: 1-line block ×3, first 2 shown]
	s_mov_b32 s6, 0xbf3bfb3b
	s_mov_b32 s5, 0x3f5ff5aa
	;; [unrolled: 1-line block ×3, first 2 shown]
	v_add_co_u32_e32 v0, vcc, s12, v0
	s_movk_i32 s12, 0x5b2
	s_waitcnt vmcnt(5) lgkmcnt(5)
	v_mul_f32_e32 v14, v65, v33
	s_waitcnt vmcnt(4) lgkmcnt(0)
	v_mul_f32_e32 v29, v28, v39
	s_waitcnt vmcnt(3)
	v_mul_f32_e32 v40, v48, v79
	v_mul_f32_e32 v41, v63, v77
	;; [unrolled: 1-line block ×10, first 2 shown]
	v_fma_f32 v14, v59, v32, -v14
	v_fma_f32 v29, v75, v38, -v29
	;; [unrolled: 1-line block ×6, first 2 shown]
	v_fmac_f32_e32 v39, v28, v38
	v_fmac_f32_e32 v33, v65, v32
	;; [unrolled: 1-line block ×6, first 2 shown]
	v_sub_f32_e32 v28, v14, v29
	v_sub_f32_e32 v32, v22, v40
	v_sub_f32_e32 v36, v26, v41
	v_add_f32_e32 v38, v33, v39
	v_add_f32_e32 v43, v35, v37
	;; [unrolled: 1-line block ×7, first 2 shown]
	v_sub_f32_e32 v57, v22, v26
	v_add_f32_e32 v59, v14, v26
	v_sub_f32_e32 v37, v35, v37
	v_sub_f32_e32 v35, v32, v36
	;; [unrolled: 1-line block ×4, first 2 shown]
	v_add_f32_e32 v48, v34, v48
	v_mul_f32_e32 v57, 0x3d64c772, v57
	v_add_f32_e32 v22, v22, v59
	v_sub_f32_e32 v29, v79, v77
	v_sub_f32_e32 v40, v38, v34
	v_mul_f32_e32 v65, 0xbf08b237, v35
	v_mul_f32_e32 v41, 0x3d64c772, v41
	v_add_f32_e32 v35, v18, v48
	v_mov_b32_e32 v18, v57
	v_add_f32_e32 v34, v19, v22
	v_sub_f32_e32 v33, v33, v39
	v_sub_f32_e32 v39, v28, v32
	v_add_f32_e32 v32, v32, v36
	v_sub_f32_e32 v63, v29, v37
	v_mul_f32_e32 v70, 0x3f4a47b2, v52
	v_mov_b32_e32 v75, v41
	v_fmac_f32_e32 v18, 0x3f4a47b2, v52
	v_mov_b32_e32 v52, v34
	v_sub_f32_e32 v36, v36, v28
	v_add_f32_e32 v32, v28, v32
	v_mul_f32_e32 v69, 0x3f4a47b2, v40
	v_mul_f32_e32 v59, 0xbf08b237, v63
	v_mov_b32_e32 v63, v65
	v_fmac_f32_e32 v75, 0x3f4a47b2, v40
	v_mov_b32_e32 v40, v35
	v_fmac_f32_e32 v52, 0xbf955555, v22
	v_mul_f32_e32 v28, 0x3f5ff5aa, v36
	v_sub_f32_e32 v38, v43, v38
	v_fmac_f32_e32 v63, 0x3eae86e6, v39
	v_fmac_f32_e32 v40, 0xbf955555, v48
	v_add_f32_e32 v48, v18, v52
	v_add_f32_e32 v18, v29, v37
	v_fma_f32 v39, v39, s4, -v28
	v_fma_f32 v28, v38, s6, -v69
	v_sub_f32_e32 v37, v37, v33
	v_sub_f32_e32 v61, v33, v29
	v_mov_b32_e32 v76, v59
	v_add_f32_e32 v43, v28, v40
	v_sub_f32_e32 v14, v26, v14
	v_mul_f32_e32 v28, 0x3f5ff5aa, v37
	v_fmac_f32_e32 v76, 0x3eae86e6, v61
	v_fmac_f32_e32 v63, 0x3ee1c552, v32
	v_add_f32_e32 v22, v75, v40
	v_add_f32_e32 v75, v33, v18
	v_fma_f32 v26, v14, s6, -v70
	v_fma_f32 v61, v61, s4, -v28
	v_fma_f32 v33, v38, s7, -v41
	v_fma_f32 v36, v36, s5, -v65
	v_add_f32_e32 v19, v63, v22
	v_fmac_f32_e32 v39, 0x3ee1c552, v32
	v_add_f32_e32 v26, v26, v52
	v_fmac_f32_e32 v61, 0x3ee1c552, v75
	;; [unrolled: 2-line block ×3, first 2 shown]
	v_sub_f32_e32 v41, v22, v63
	s_waitcnt vmcnt(1)
	v_mul_f32_e32 v22, v55, v87
	v_add_f32_e32 v29, v39, v43
	v_sub_f32_e32 v28, v26, v61
	v_sub_f32_e32 v33, v38, v36
	v_fma_f32 v40, v37, s5, -v59
	v_fma_f32 v14, v14, s7, -v57
	v_add_f32_e32 v37, v36, v38
	v_sub_f32_e32 v39, v43, v39
	v_add_f32_e32 v38, v61, v26
	v_fma_f32 v43, v31, v86, -v22
	s_waitcnt vmcnt(0)
	v_mul_f32_e32 v22, v51, v91
	v_mul_f32_e32 v26, v47, v83
	v_add_f32_e32 v14, v14, v52
	v_fma_f32 v52, v25, v90, -v22
	v_mul_f32_e32 v22, v62, v89
	v_fma_f32 v69, v21, v82, -v26
	v_mul_f32_e32 v26, v60, v85
	v_fma_f32 v59, v56, v88, -v22
	v_fma_f32 v70, v42, v84, -v26
	v_sub_f32_e32 v22, v52, v59
	v_sub_f32_e32 v79, v69, v70
	;; [unrolled: 1-line block ×3, first 2 shown]
	v_fmac_f32_e32 v40, 0x3ee1c552, v75
	v_mul_f32_e32 v92, 0xbf08b237, v26
	v_mul_u32_u24_e32 v26, 6, v66
	v_fmac_f32_e32 v76, 0x3ee1c552, v75
	v_add_f32_e32 v32, v40, v14
	v_sub_f32_e32 v36, v14, v40
	v_mul_f32_e32 v14, v64, v81
	v_mul_f32_e32 v31, v31, v87
	v_lshlrev_b32_e32 v26, 3, v26
	v_sub_f32_e32 v18, v48, v76
	v_add_f32_e32 v40, v76, v48
	v_fma_f32 v14, v58, v80, -v14
	v_fmac_f32_e32 v31, v55, v86
	v_mul_f32_e32 v81, v58, v81
	v_mul_f32_e32 v86, v56, v89
	global_load_dwordx4 v[55:58], v26, s[8:9] offset:1920
	global_load_dwordx4 v[75:78], v26, s[8:9] offset:1936
	v_fmac_f32_e32 v81, v64, v80
	v_fmac_f32_e32 v86, v62, v88
	global_load_dwordx4 v[61:64], v26, s[8:9] offset:1952
	v_mul_f32_e32 v42, v42, v85
	v_sub_f32_e32 v48, v14, v43
	v_mul_f32_e32 v25, v25, v91
	v_fmac_f32_e32 v42, v60, v84
	v_mul_f32_e32 v60, v21, v83
	v_sub_f32_e32 v65, v48, v22
	v_add_f32_e32 v22, v22, v79
	v_fmac_f32_e32 v25, v51, v90
	v_fmac_f32_e32 v60, v47, v82
	v_add_f32_e32 v94, v48, v22
	v_add_f32_e32 v80, v81, v31
	;; [unrolled: 1-line block ×4, first 2 shown]
	v_sub_f32_e32 v21, v22, v47
	v_add_f32_e32 v26, v80, v47
	v_mul_f32_e32 v82, 0x3d64c772, v21
	v_add_f32_e32 v26, v22, v26
	v_sub_f32_e32 v51, v80, v22
	v_mov_b32_e32 v21, v82
	v_add_f32_e32 v22, v71, v26
	v_mul_f32_e32 v87, 0x3f4a47b2, v51
	v_fmac_f32_e32 v21, 0x3f4a47b2, v51
	v_mov_b32_e32 v51, v22
	v_fmac_f32_e32 v51, 0xbf955555, v26
	v_add_f32_e32 v71, v21, v51
	v_add_f32_e32 v21, v52, v59
	;; [unrolled: 1-line block ×3, first 2 shown]
	v_sub_f32_e32 v69, v21, v59
	v_add_f32_e32 v14, v14, v43
	v_mul_f32_e32 v69, 0x3d64c772, v69
	v_sub_f32_e32 v43, v14, v21
	v_mov_b32_e32 v70, v69
	v_mul_f32_e32 v52, 0x3f4a47b2, v43
	v_fmac_f32_e32 v70, 0x3f4a47b2, v43
	v_add_f32_e32 v43, v14, v59
	v_add_f32_e32 v43, v21, v43
	;; [unrolled: 1-line block ×3, first 2 shown]
	v_mov_b32_e32 v74, v21
	v_sub_f32_e32 v25, v25, v86
	v_sub_f32_e32 v42, v60, v42
	v_fmac_f32_e32 v74, 0xbf955555, v43
	v_sub_f32_e32 v43, v25, v42
	v_sub_f32_e32 v31, v81, v31
	v_mul_f32_e32 v60, 0xbf08b237, v43
	v_add_f32_e32 v83, v70, v74
	v_sub_f32_e32 v70, v31, v25
	v_mov_b32_e32 v81, v60
	v_add_f32_e32 v25, v25, v42
	v_sub_f32_e32 v48, v79, v48
	v_sub_f32_e32 v14, v59, v14
	v_mov_b32_e32 v93, v92
	v_fmac_f32_e32 v81, 0x3eae86e6, v70
	v_add_f32_e32 v84, v31, v25
	v_mul_f32_e32 v43, 0x3f5ff5aa, v48
	v_sub_f32_e32 v47, v47, v80
	v_fma_f32 v52, v14, s6, -v52
	v_sub_f32_e32 v31, v42, v31
	v_fma_f32 v14, v14, s7, -v69
	v_fmac_f32_e32 v93, 0x3eae86e6, v65
	v_fmac_f32_e32 v81, 0x3ee1c552, v84
	v_fma_f32 v65, v65, s4, -v43
	v_fma_f32 v43, v47, s6, -v87
	v_add_f32_e32 v59, v52, v74
	v_mul_f32_e32 v42, 0x3f5ff5aa, v31
	v_fma_f32 v47, v47, s7, -v82
	v_fma_f32 v52, v48, s5, -v92
	;; [unrolled: 1-line block ×3, first 2 shown]
	v_add_f32_e32 v14, v14, v74
	v_sub_f32_e32 v25, v83, v81
	v_add_f32_e32 v79, v43, v51
	v_add_f32_e32 v51, v47, v51
	v_fmac_f32_e32 v52, 0x3ee1c552, v94
	v_fmac_f32_e32 v31, 0x3ee1c552, v84
	v_add_f32_e32 v69, v81, v83
	v_sub_f32_e32 v48, v51, v52
	s_waitcnt vmcnt(2)
	v_mul_f32_e32 v81, v46, v58
	s_waitcnt vmcnt(1)
	v_mul_f32_e32 v74, v53, v76
	v_fma_f32 v74, v27, v75, -v74
	v_mul_f32_e32 v27, v27, v76
	s_waitcnt vmcnt(0)
	v_mul_f32_e32 v82, v49, v62
	v_add_f32_e32 v47, v31, v14
	v_add_f32_e32 v52, v52, v51
	v_sub_f32_e32 v51, v14, v31
	v_mul_f32_e32 v31, v54, v64
	v_fma_f32 v81, v20, v57, -v81
	v_fma_f32 v82, v23, v61, -v82
	v_fmac_f32_e32 v27, v53, v75
	v_mul_f32_e32 v53, v24, v78
	v_mul_f32_e32 v23, v23, v62
	v_mul_f32_e32 v20, v20, v58
	v_mul_f32_e32 v14, v45, v56
	v_fma_f32 v31, v30, v63, -v31
	v_mul_f32_e32 v30, v30, v64
	v_fmac_f32_e32 v53, v50, v77
	v_fmac_f32_e32 v23, v49, v61
	v_fmac_f32_e32 v20, v46, v57
	v_fma_f32 v70, v70, s4, -v42
	v_fma_f32 v14, v17, v55, -v14
	v_fmac_f32_e32 v30, v54, v63
	v_mul_f32_e32 v54, v17, v56
	v_add_f32_e32 v17, v53, v27
	v_add_f32_e32 v46, v20, v23
	v_fmac_f32_e32 v93, 0x3ee1c552, v94
	v_fmac_f32_e32 v70, 0x3ee1c552, v84
	;; [unrolled: 1-line block ×3, first 2 shown]
	v_sub_f32_e32 v49, v17, v46
	v_add_f32_e32 v26, v93, v71
	v_sub_f32_e32 v42, v59, v70
	v_add_f32_e32 v59, v70, v59
	v_sub_f32_e32 v70, v71, v93
	v_mul_f32_e32 v71, v50, v78
	v_add_f32_e32 v45, v54, v30
	v_mul_f32_e32 v49, 0x3d64c772, v49
	v_fma_f32 v71, v24, v77, -v71
	v_sub_f32_e32 v24, v45, v17
	v_mov_b32_e32 v55, v49
	v_mul_f32_e32 v50, 0x3f4a47b2, v24
	v_fmac_f32_e32 v55, 0x3f4a47b2, v24
	v_add_f32_e32 v24, v45, v46
	v_fmac_f32_e32 v65, 0x3ee1c552, v94
	v_add_f32_e32 v24, v17, v24
	v_add_f32_e32 v43, v65, v79
	v_sub_f32_e32 v60, v79, v65
	v_sub_f32_e32 v65, v14, v31
	v_add_f32_e32 v17, v44, v24
	v_add_f32_e32 v14, v14, v31
	;; [unrolled: 1-line block ×4, first 2 shown]
	v_mov_b32_e32 v44, v17
	v_sub_f32_e32 v58, v31, v57
	v_fmac_f32_e32 v44, 0xbf955555, v24
	v_mul_f32_e32 v58, 0x3d64c772, v58
	v_add_f32_e32 v61, v55, v44
	v_sub_f32_e32 v55, v14, v31
	v_mov_b32_e32 v62, v58
	v_mul_f32_e32 v56, 0x3f4a47b2, v55
	v_fmac_f32_e32 v62, 0x3f4a47b2, v55
	v_add_f32_e32 v55, v14, v57
	v_add_f32_e32 v31, v31, v55
	;; [unrolled: 1-line block ×3, first 2 shown]
	v_mov_b32_e32 v55, v16
	v_sub_f32_e32 v83, v81, v82
	v_fmac_f32_e32 v55, 0xbf955555, v31
	v_sub_f32_e32 v79, v71, v74
	v_add_f32_e32 v63, v62, v55
	v_sub_f32_e32 v62, v83, v65
	v_sub_f32_e32 v80, v65, v79
	;; [unrolled: 1-line block ×3, first 2 shown]
	v_add_f32_e32 v79, v79, v83
	v_mul_f32_e32 v31, 0x3f5ff5aa, v62
	v_sub_f32_e32 v45, v46, v45
	v_sub_f32_e32 v14, v57, v14
	v_add_f32_e32 v79, v65, v79
	v_sub_f32_e32 v27, v53, v27
	v_sub_f32_e32 v20, v20, v23
	v_fma_f32 v65, v80, s4, -v31
	v_fma_f32 v31, v45, s6, -v50
	;; [unrolled: 1-line block ×3, first 2 shown]
	v_sub_f32_e32 v30, v54, v30
	v_sub_f32_e32 v23, v27, v20
	v_add_f32_e32 v71, v50, v55
	v_fma_f32 v45, v45, s7, -v49
	v_mad_u64_u32 v[49:50], s[10:11], s2, v66, 0
	v_mul_f32_e32 v84, 0xbf08b237, v84
	v_mul_f32_e32 v54, 0xbf08b237, v23
	v_add_f32_e32 v23, v27, v20
	v_sub_f32_e32 v20, v20, v30
	v_sub_f32_e32 v53, v30, v27
	v_mov_b32_e32 v64, v54
	v_add_f32_e32 v27, v30, v23
	v_mul_f32_e32 v30, 0x3f5ff5aa, v20
	v_fma_f32 v56, v62, s5, -v84
	v_fma_f32 v20, v20, s5, -v54
	;; [unrolled: 1-line block ×3, first 2 shown]
	v_fmac_f32_e32 v64, 0x3eae86e6, v53
	v_fma_f32 v74, v53, s4, -v30
	v_add_f32_e32 v53, v45, v44
	v_fmac_f32_e32 v56, 0x3ee1c552, v79
	v_fmac_f32_e32 v20, 0x3ee1c552, v27
	v_add_f32_e32 v14, v14, v55
	v_add_f32_e32 v46, v31, v44
	v_sub_f32_e32 v45, v53, v56
	v_add_f32_e32 v44, v20, v14
	v_add_f32_e32 v54, v56, v53
	v_sub_f32_e32 v53, v14, v20
	v_mov_b32_e32 v14, v50
	v_mad_u64_u32 v[57:58], s[10:11], s3, v66, v[14:15]
	v_add_u32_e32 v20, 0xf3, v66
	v_mov_b32_e32 v85, v84
	v_mov_b32_e32 v50, v57
	v_mad_u64_u32 v[57:58], s[10:11], s2, v20, 0
	v_fmac_f32_e32 v85, 0x3eae86e6, v80
	v_mov_b32_e32 v14, s13
	v_fmac_f32_e32 v85, 0x3ee1c552, v79
	v_fmac_f32_e32 v64, 0x3ee1c552, v27
	v_addc_co_u32_e32 v1, vcc, v14, v1, vcc
	v_mov_b32_e32 v14, v58
	v_add_f32_e32 v24, v85, v61
	v_sub_f32_e32 v23, v63, v64
	v_fmac_f32_e32 v65, 0x3ee1c552, v79
	v_sub_f32_e32 v62, v61, v85
	v_add_f32_e32 v61, v64, v63
	v_mad_u64_u32 v[63:64], s[10:11], s3, v20, v[14:15]
	v_add_u32_e32 v20, 0x1e6, v66
	v_add_f32_e32 v31, v65, v46
	v_sub_f32_e32 v56, v46, v65
	v_mad_u64_u32 v[64:65], s[10:11], s2, v20, 0
	v_lshlrev_b64 v[49:50], 3, v[49:50]
	v_mov_b32_e32 v58, v63
	v_add_co_u32_e32 v49, vcc, v0, v49
	v_addc_co_u32_e32 v50, vcc, v1, v50, vcc
	v_mov_b32_e32 v14, v65
	global_store_dwordx2 v[49:50], v[16:17], off
	v_mad_u64_u32 v[49:50], s[10:11], s3, v20, v[14:15]
	v_add_u32_e32 v20, 0x2d9, v66
	v_lshlrev_b64 v[16:17], 3, v[57:58]
	v_mov_b32_e32 v65, v49
	v_mad_u64_u32 v[49:50], s[10:11], s2, v20, 0
	v_add_co_u32_e32 v16, vcc, v0, v16
	v_mov_b32_e32 v14, v50
	v_addc_co_u32_e32 v17, vcc, v1, v17, vcc
	v_mad_u64_u32 v[57:58], s[10:11], s3, v20, v[14:15]
	v_add_u32_e32 v20, 0x3cc, v66
	global_store_dwordx2 v[16:17], v[61:62], off
	v_mad_u64_u32 v[61:62], s[10:11], s2, v20, 0
	v_lshlrev_b64 v[16:17], 3, v[64:65]
	v_fmac_f32_e32 v74, 0x3ee1c552, v27
	v_add_co_u32_e32 v16, vcc, v0, v16
	v_add_f32_e32 v55, v74, v71
	v_addc_co_u32_e32 v17, vcc, v1, v17, vcc
	v_mov_b32_e32 v50, v57
	v_mov_b32_e32 v14, v62
	global_store_dwordx2 v[16:17], v[55:56], off
	v_lshlrev_b64 v[16:17], 3, v[49:50]
	v_mad_u64_u32 v[49:50], s[10:11], s3, v20, v[14:15]
	v_add_u32_e32 v20, 0x4bf, v66
	v_add_co_u32_e32 v16, vcc, v0, v16
	v_mov_b32_e32 v62, v49
	v_mad_u64_u32 v[49:50], s[10:11], s2, v20, 0
	v_addc_co_u32_e32 v17, vcc, v1, v17, vcc
	v_mov_b32_e32 v14, v50
	global_store_dwordx2 v[16:17], v[53:54], off
	v_mad_u64_u32 v[53:54], s[10:11], s3, v20, v[14:15]
	v_lshlrev_b64 v[16:17], 3, v[61:62]
	v_add_u32_e32 v20, 0x5b2, v66
	v_add_co_u32_e32 v16, vcc, v0, v16
	v_addc_co_u32_e32 v17, vcc, v1, v17, vcc
	v_mov_b32_e32 v50, v53
	v_mad_u64_u32 v[54:55], s[10:11], s2, v20, 0
	global_store_dwordx2 v[16:17], v[44:45], off
	v_lshlrev_b64 v[16:17], 3, v[49:50]
	v_sub_f32_e32 v30, v71, v74
	v_add_co_u32_e32 v16, vcc, v0, v16
	v_addc_co_u32_e32 v17, vcc, v1, v17, vcc
	v_mov_b32_e32 v14, v55
	global_store_dwordx2 v[16:17], v[30:31], off
	v_mad_u64_u32 v[30:31], s[10:11], s2, v68, 0
	v_mad_u64_u32 v[44:45], s[10:11], s3, v20, v[14:15]
	v_mov_b32_e32 v14, v31
	v_add_u32_e32 v20, 0x132, v66
	v_mov_b32_e32 v55, v44
	v_mad_u64_u32 v[44:45], s[10:11], s3, v68, v[14:15]
	v_lshlrev_b64 v[16:17], 3, v[54:55]
	v_mad_u64_u32 v[45:46], s[10:11], s2, v20, 0
	v_add_co_u32_e32 v16, vcc, v0, v16
	v_addc_co_u32_e32 v17, vcc, v1, v17, vcc
	v_mov_b32_e32 v31, v44
	global_store_dwordx2 v[16:17], v[23:24], off
	v_lshlrev_b64 v[16:17], 3, v[30:31]
	v_mov_b32_e32 v14, v46
	v_add_co_u32_e32 v16, vcc, v0, v16
	v_addc_co_u32_e32 v17, vcc, v1, v17, vcc
	global_store_dwordx2 v[16:17], v[21:22], off
	v_add_u32_e32 v22, 0x225, v66
	v_mad_u64_u32 v[23:24], s[10:11], s3, v20, v[14:15]
	v_mad_u64_u32 v[20:21], s[10:11], s2, v22, 0
	v_add_u32_e32 v24, 0x318, v66
	v_mov_b32_e32 v46, v23
	v_mov_b32_e32 v14, v21
	v_mad_u64_u32 v[21:22], s[10:11], s3, v22, v[14:15]
	v_mad_u64_u32 v[22:23], s[10:11], s2, v24, 0
	v_lshlrev_b64 v[16:17], 3, v[45:46]
	v_add_co_u32_e32 v16, vcc, v0, v16
	v_addc_co_u32_e32 v17, vcc, v1, v17, vcc
	v_mov_b32_e32 v14, v23
	global_store_dwordx2 v[16:17], v[69:70], off
	v_lshlrev_b64 v[16:17], 3, v[20:21]
	v_mad_u64_u32 v[20:21], s[10:11], s3, v24, v[14:15]
	v_add_co_u32_e32 v16, vcc, v0, v16
	v_addc_co_u32_e32 v17, vcc, v1, v17, vcc
	v_mov_b32_e32 v23, v20
	global_store_dwordx2 v[16:17], v[59:60], off
	v_lshlrev_b64 v[16:17], 3, v[22:23]
	v_add_u32_e32 v22, 0x40b, v66
	v_mad_u64_u32 v[20:21], s[10:11], s2, v22, 0
	v_add_u32_e32 v24, 0x4fe, v66
	v_add_co_u32_e32 v16, vcc, v0, v16
	v_mov_b32_e32 v14, v21
	v_mad_u64_u32 v[21:22], s[10:11], s3, v22, v[14:15]
	v_mad_u64_u32 v[22:23], s[10:11], s2, v24, 0
	v_addc_co_u32_e32 v17, vcc, v1, v17, vcc
	v_mov_b32_e32 v14, v23
	global_store_dwordx2 v[16:17], v[51:52], off
	v_lshlrev_b64 v[16:17], 3, v[20:21]
	v_mad_u64_u32 v[20:21], s[10:11], s3, v24, v[14:15]
	v_add_co_u32_e32 v16, vcc, v0, v16
	v_addc_co_u32_e32 v17, vcc, v1, v17, vcc
	v_mov_b32_e32 v23, v20
	global_store_dwordx2 v[16:17], v[47:48], off
	v_lshlrev_b64 v[16:17], 3, v[22:23]
	v_add_u32_e32 v22, 0x5f1, v66
	v_mad_u64_u32 v[20:21], s[10:11], s2, v22, 0
	v_add_u32_e32 v23, 0x7e, v66
	s_mov_b32 s10, 0x86d90545
	v_mul_hi_u32 v24, v23, s10
	v_mov_b32_e32 v14, v21
	v_mad_u64_u32 v[21:22], s[10:11], s3, v22, v[14:15]
	v_lshrrev_b32_e32 v14, 7, v24
	v_mad_u32_u24 v24, v14, s12, v23
	v_mad_u64_u32 v[22:23], s[10:11], s2, v24, 0
	v_add_co_u32_e32 v16, vcc, v0, v16
	v_addc_co_u32_e32 v17, vcc, v1, v17, vcc
	v_mov_b32_e32 v14, v23
	global_store_dwordx2 v[16:17], v[42:43], off
	v_lshlrev_b64 v[16:17], 3, v[20:21]
	v_mad_u64_u32 v[20:21], s[10:11], s3, v24, v[14:15]
	v_add_co_u32_e32 v16, vcc, v0, v16
	v_addc_co_u32_e32 v17, vcc, v1, v17, vcc
	v_mov_b32_e32 v23, v20
	global_store_dwordx2 v[16:17], v[25:26], off
	v_lshlrev_b64 v[16:17], 3, v[22:23]
	v_add_u32_e32 v22, 0xf3, v24
	v_mad_u64_u32 v[20:21], s[10:11], s2, v22, 0
	v_add_u32_e32 v25, 0x1e6, v24
	v_add_co_u32_e32 v16, vcc, v0, v16
	v_mov_b32_e32 v14, v21
	v_mad_u64_u32 v[21:22], s[10:11], s3, v22, v[14:15]
	v_mad_u64_u32 v[22:23], s[10:11], s2, v25, 0
	v_addc_co_u32_e32 v17, vcc, v1, v17, vcc
	v_mov_b32_e32 v14, v23
	global_store_dwordx2 v[16:17], v[34:35], off
	v_lshlrev_b64 v[16:17], 3, v[20:21]
	v_mad_u64_u32 v[20:21], s[10:11], s3, v25, v[14:15]
	v_add_co_u32_e32 v16, vcc, v0, v16
	v_addc_co_u32_e32 v17, vcc, v1, v17, vcc
	v_mov_b32_e32 v23, v20
	global_store_dwordx2 v[16:17], v[40:41], off
	v_lshlrev_b64 v[16:17], 3, v[22:23]
	v_add_u32_e32 v22, 0x2d9, v24
	v_mad_u64_u32 v[20:21], s[10:11], s2, v22, 0
	v_add_u32_e32 v25, 0x3cc, v24
	v_add_co_u32_e32 v16, vcc, v0, v16
	v_mov_b32_e32 v14, v21
	v_mad_u64_u32 v[21:22], s[10:11], s3, v22, v[14:15]
	v_mad_u64_u32 v[22:23], s[10:11], s2, v25, 0
	;; [unrolled: 17-line block ×3, first 2 shown]
	v_addc_co_u32_e32 v17, vcc, v1, v17, vcc
	v_mov_b32_e32 v14, v23
	global_store_dwordx2 v[16:17], v[32:33], off
	v_lshlrev_b64 v[16:17], 3, v[20:21]
	v_mad_u64_u32 v[20:21], s[10:11], s3, v24, v[14:15]
	v_add_co_u32_e32 v16, vcc, v0, v16
	v_addc_co_u32_e32 v17, vcc, v1, v17, vcc
	v_mov_b32_e32 v23, v20
	global_store_dwordx2 v[16:17], v[28:29], off
	v_lshlrev_b64 v[16:17], 3, v[22:23]
	v_add_co_u32_e32 v16, vcc, v0, v16
	v_addc_co_u32_e32 v17, vcc, v1, v17, vcc
	global_store_dwordx2 v[16:17], v[18:19], off
	s_and_b64 exec, exec, s[0:1]
	s_cbranch_execz .LBB0_20
; %bb.19:
	v_subrev_u32_e32 v14, 54, v66
	v_cndmask_b32_e64 v14, v14, v67, s[0:1]
	v_mul_i32_i24_e32 v14, 6, v14
	v_lshlrev_b64 v[14:15], 3, v[14:15]
	v_mov_b32_e32 v16, s9
	v_add_co_u32_e32 v26, vcc, s8, v14
	v_addc_co_u32_e32 v27, vcc, v16, v15, vcc
	global_load_dwordx4 v[14:17], v[26:27], off offset:1920
	global_load_dwordx4 v[18:21], v[26:27], off offset:1936
	;; [unrolled: 1-line block ×3, first 2 shown]
	s_waitcnt vmcnt(2)
	v_mul_f32_e32 v26, v6, v15
	v_mul_f32_e32 v27, v7, v17
	s_waitcnt vmcnt(0)
	v_mul_f32_e32 v30, v8, v23
	v_mul_f32_e32 v31, v9, v25
	;; [unrolled: 1-line block ×10, first 2 shown]
	v_fma_f32 v2, v2, v14, -v26
	v_fma_f32 v3, v3, v16, -v27
	;; [unrolled: 1-line block ×4, first 2 shown]
	v_fmac_f32_e32 v15, v6, v14
	v_fmac_f32_e32 v17, v7, v16
	v_fma_f32 v6, v10, v18, -v28
	v_fmac_f32_e32 v19, v12, v18
	v_fma_f32 v7, v11, v20, -v29
	v_fmac_f32_e32 v21, v13, v20
	v_fmac_f32_e32 v23, v8, v22
	;; [unrolled: 1-line block ×3, first 2 shown]
	v_add_f32_e32 v8, v2, v5
	v_add_f32_e32 v10, v3, v4
	;; [unrolled: 1-line block ×4, first 2 shown]
	v_sub_f32_e32 v3, v3, v4
	v_sub_f32_e32 v4, v17, v23
	v_add_f32_e32 v12, v6, v7
	v_add_f32_e32 v13, v19, v21
	v_sub_f32_e32 v6, v7, v6
	v_sub_f32_e32 v7, v21, v19
	v_add_f32_e32 v14, v10, v8
	v_sub_f32_e32 v2, v2, v5
	v_sub_f32_e32 v5, v15, v25
	;; [unrolled: 3-line block ×3, first 2 shown]
	v_sub_f32_e32 v8, v8, v12
	v_sub_f32_e32 v9, v9, v13
	;; [unrolled: 1-line block ×4, first 2 shown]
	v_add_f32_e32 v18, v6, v3
	v_add_f32_e32 v19, v7, v4
	v_sub_f32_e32 v20, v6, v3
	v_sub_f32_e32 v21, v7, v4
	v_add_f32_e32 v12, v12, v14
	v_sub_f32_e32 v6, v2, v6
	v_sub_f32_e32 v7, v5, v7
	v_sub_f32_e32 v22, v3, v2
	v_sub_f32_e32 v4, v4, v5
	v_add_f32_e32 v13, v13, v15
	v_add_f32_e32 v14, v18, v2
	;; [unrolled: 1-line block ×3, first 2 shown]
	v_mul_f32_e32 v8, 0x3f4a47b2, v8
	v_mul_f32_e32 v9, 0x3f4a47b2, v9
	;; [unrolled: 1-line block ×6, first 2 shown]
	v_add_f32_e32 v2, v72, v12
	v_mul_f32_e32 v21, 0x3f5ff5aa, v22
	v_mul_f32_e32 v23, 0x3f5ff5aa, v4
	v_add_f32_e32 v3, v73, v13
	v_fma_f32 v15, v16, s7, -v15
	v_fma_f32 v18, v17, s7, -v18
	;; [unrolled: 1-line block ×3, first 2 shown]
	v_fmac_f32_e32 v8, 0x3d64c772, v10
	v_fma_f32 v10, v17, s6, -v9
	v_fma_f32 v17, v22, s5, -v19
	;; [unrolled: 1-line block ×3, first 2 shown]
	v_mov_b32_e32 v4, v2
	v_fmac_f32_e32 v19, 0x3eae86e6, v6
	v_fma_f32 v21, v6, s4, -v21
	v_mov_b32_e32 v6, v3
	v_fmac_f32_e32 v4, 0xbf955555, v12
	v_fmac_f32_e32 v6, 0xbf955555, v13
	v_add_f32_e32 v12, v15, v4
	v_add_f32_e32 v15, v16, v4
	v_add_u32_e32 v16, 0xbd, v66
	v_fmac_f32_e32 v9, 0x3d64c772, v11
	v_add_f32_e32 v13, v18, v6
	v_add_f32_e32 v18, v10, v6
	v_mad_u64_u32 v[10:11], s[0:1], s2, v16, 0
	v_fma_f32 v23, v7, s4, -v23
	v_fmac_f32_e32 v22, 0x3ee1c552, v5
	v_fmac_f32_e32 v20, 0x3eae86e6, v7
	v_add_f32_e32 v24, v8, v4
	v_fmac_f32_e32 v17, 0x3ee1c552, v14
	v_fmac_f32_e32 v21, 0x3ee1c552, v14
	;; [unrolled: 1-line block ×3, first 2 shown]
	v_sub_f32_e32 v8, v12, v22
	v_add_f32_e32 v12, v22, v12
	v_add_f32_e32 v25, v9, v6
	v_fmac_f32_e32 v19, 0x3ee1c552, v14
	v_fmac_f32_e32 v20, 0x3ee1c552, v5
	v_add_f32_e32 v6, v23, v15
	v_sub_f32_e32 v7, v18, v21
	v_add_f32_e32 v9, v17, v13
	v_sub_f32_e32 v13, v13, v17
	v_sub_f32_e32 v14, v15, v23
	v_mad_u64_u32 v[16:17], s[0:1], s3, v16, v[11:12]
	v_add_f32_e32 v15, v21, v18
	v_add_u32_e32 v21, 0x1b0, v66
	v_add_f32_e32 v4, v20, v24
	v_sub_f32_e32 v5, v25, v19
	v_sub_f32_e32 v17, v24, v20
	v_add_f32_e32 v18, v19, v25
	v_mad_u64_u32 v[19:20], s[0:1], s2, v21, 0
	v_mov_b32_e32 v11, v16
	v_lshlrev_b64 v[10:11], 3, v[10:11]
	v_mov_b32_e32 v16, v20
	v_mad_u64_u32 v[20:21], s[0:1], s3, v21, v[16:17]
	v_add_u32_e32 v16, 0x2a3, v66
	v_mad_u64_u32 v[21:22], s[0:1], s2, v16, 0
	v_add_co_u32_e32 v10, vcc, v0, v10
	v_addc_co_u32_e32 v11, vcc, v1, v11, vcc
	global_store_dwordx2 v[10:11], v[2:3], off
	v_mov_b32_e32 v10, v22
	v_mad_u64_u32 v[10:11], s[0:1], s3, v16, v[10:11]
	v_lshlrev_b64 v[2:3], 3, v[19:20]
	v_add_co_u32_e32 v2, vcc, v0, v2
	v_addc_co_u32_e32 v3, vcc, v1, v3, vcc
	v_mov_b32_e32 v22, v10
	v_add_u32_e32 v10, 0x396, v66
	global_store_dwordx2 v[2:3], v[4:5], off
	v_mad_u64_u32 v[4:5], s[0:1], s2, v10, 0
	v_lshlrev_b64 v[2:3], 3, v[21:22]
	v_mad_u64_u32 v[10:11], s[0:1], s3, v10, v[5:6]
	v_add_u32_e32 v11, 0x489, v66
	v_mad_u64_u32 v[19:20], s[0:1], s2, v11, 0
	v_add_co_u32_e32 v2, vcc, v0, v2
	v_addc_co_u32_e32 v3, vcc, v1, v3, vcc
	v_mov_b32_e32 v5, v10
	global_store_dwordx2 v[2:3], v[6:7], off
	v_lshlrev_b64 v[2:3], 3, v[4:5]
	v_mov_b32_e32 v4, v20
	v_mad_u64_u32 v[4:5], s[0:1], s3, v11, v[4:5]
	v_add_u32_e32 v6, 0x57c, v66
	v_add_co_u32_e32 v2, vcc, v0, v2
	v_mov_b32_e32 v20, v4
	v_mad_u64_u32 v[4:5], s[0:1], s2, v6, 0
	v_addc_co_u32_e32 v3, vcc, v1, v3, vcc
	global_store_dwordx2 v[2:3], v[8:9], off
	v_mad_u64_u32 v[5:6], s[0:1], s3, v6, v[5:6]
	v_add_u32_e32 v8, 0x66f, v66
	v_lshlrev_b64 v[2:3], 3, v[19:20]
	v_mad_u64_u32 v[6:7], s[0:1], s2, v8, 0
	v_add_co_u32_e32 v2, vcc, v0, v2
	v_addc_co_u32_e32 v3, vcc, v1, v3, vcc
	global_store_dwordx2 v[2:3], v[12:13], off
	v_lshlrev_b64 v[2:3], 3, v[4:5]
	v_mov_b32_e32 v4, v7
	v_mad_u64_u32 v[4:5], s[0:1], s3, v8, v[4:5]
	v_add_co_u32_e32 v2, vcc, v0, v2
	v_addc_co_u32_e32 v3, vcc, v1, v3, vcc
	v_mov_b32_e32 v7, v4
	global_store_dwordx2 v[2:3], v[14:15], off
	v_lshlrev_b64 v[2:3], 3, v[6:7]
	v_add_co_u32_e32 v0, vcc, v0, v2
	v_addc_co_u32_e32 v1, vcc, v1, v3, vcc
	global_store_dwordx2 v[0:1], v[17:18], off
.LBB0_20:
	s_endpgm
	.section	.rodata,"a",@progbits
	.p2align	6, 0x0
	.amdhsa_kernel fft_rtc_fwd_len1701_factors_3_3_3_3_3_7_wgs_63_tpt_63_halfLds_sp_ip_CI_sbrr_dirReg
		.amdhsa_group_segment_fixed_size 0
		.amdhsa_private_segment_fixed_size 0
		.amdhsa_kernarg_size 88
		.amdhsa_user_sgpr_count 6
		.amdhsa_user_sgpr_private_segment_buffer 1
		.amdhsa_user_sgpr_dispatch_ptr 0
		.amdhsa_user_sgpr_queue_ptr 0
		.amdhsa_user_sgpr_kernarg_segment_ptr 1
		.amdhsa_user_sgpr_dispatch_id 0
		.amdhsa_user_sgpr_flat_scratch_init 0
		.amdhsa_user_sgpr_private_segment_size 0
		.amdhsa_uses_dynamic_stack 0
		.amdhsa_system_sgpr_private_segment_wavefront_offset 0
		.amdhsa_system_sgpr_workgroup_id_x 1
		.amdhsa_system_sgpr_workgroup_id_y 0
		.amdhsa_system_sgpr_workgroup_id_z 0
		.amdhsa_system_sgpr_workgroup_info 0
		.amdhsa_system_vgpr_workitem_id 0
		.amdhsa_next_free_vgpr 125
		.amdhsa_next_free_sgpr 24
		.amdhsa_reserve_vcc 1
		.amdhsa_reserve_flat_scratch 0
		.amdhsa_float_round_mode_32 0
		.amdhsa_float_round_mode_16_64 0
		.amdhsa_float_denorm_mode_32 3
		.amdhsa_float_denorm_mode_16_64 3
		.amdhsa_dx10_clamp 1
		.amdhsa_ieee_mode 1
		.amdhsa_fp16_overflow 0
		.amdhsa_exception_fp_ieee_invalid_op 0
		.amdhsa_exception_fp_denorm_src 0
		.amdhsa_exception_fp_ieee_div_zero 0
		.amdhsa_exception_fp_ieee_overflow 0
		.amdhsa_exception_fp_ieee_underflow 0
		.amdhsa_exception_fp_ieee_inexact 0
		.amdhsa_exception_int_div_zero 0
	.end_amdhsa_kernel
	.text
.Lfunc_end0:
	.size	fft_rtc_fwd_len1701_factors_3_3_3_3_3_7_wgs_63_tpt_63_halfLds_sp_ip_CI_sbrr_dirReg, .Lfunc_end0-fft_rtc_fwd_len1701_factors_3_3_3_3_3_7_wgs_63_tpt_63_halfLds_sp_ip_CI_sbrr_dirReg
                                        ; -- End function
	.section	.AMDGPU.csdata,"",@progbits
; Kernel info:
; codeLenInByte = 17796
; NumSgprs: 28
; NumVgprs: 125
; ScratchSize: 0
; MemoryBound: 0
; FloatMode: 240
; IeeeMode: 1
; LDSByteSize: 0 bytes/workgroup (compile time only)
; SGPRBlocks: 3
; VGPRBlocks: 31
; NumSGPRsForWavesPerEU: 28
; NumVGPRsForWavesPerEU: 125
; Occupancy: 2
; WaveLimiterHint : 1
; COMPUTE_PGM_RSRC2:SCRATCH_EN: 0
; COMPUTE_PGM_RSRC2:USER_SGPR: 6
; COMPUTE_PGM_RSRC2:TRAP_HANDLER: 0
; COMPUTE_PGM_RSRC2:TGID_X_EN: 1
; COMPUTE_PGM_RSRC2:TGID_Y_EN: 0
; COMPUTE_PGM_RSRC2:TGID_Z_EN: 0
; COMPUTE_PGM_RSRC2:TIDIG_COMP_CNT: 0
	.type	__hip_cuid_214ba9a4883960a4,@object ; @__hip_cuid_214ba9a4883960a4
	.section	.bss,"aw",@nobits
	.globl	__hip_cuid_214ba9a4883960a4
__hip_cuid_214ba9a4883960a4:
	.byte	0                               ; 0x0
	.size	__hip_cuid_214ba9a4883960a4, 1

	.ident	"AMD clang version 19.0.0git (https://github.com/RadeonOpenCompute/llvm-project roc-6.4.0 25133 c7fe45cf4b819c5991fe208aaa96edf142730f1d)"
	.section	".note.GNU-stack","",@progbits
	.addrsig
	.addrsig_sym __hip_cuid_214ba9a4883960a4
	.amdgpu_metadata
---
amdhsa.kernels:
  - .args:
      - .actual_access:  read_only
        .address_space:  global
        .offset:         0
        .size:           8
        .value_kind:     global_buffer
      - .offset:         8
        .size:           8
        .value_kind:     by_value
      - .actual_access:  read_only
        .address_space:  global
        .offset:         16
        .size:           8
        .value_kind:     global_buffer
      - .actual_access:  read_only
        .address_space:  global
        .offset:         24
        .size:           8
        .value_kind:     global_buffer
      - .offset:         32
        .size:           8
        .value_kind:     by_value
      - .actual_access:  read_only
        .address_space:  global
        .offset:         40
        .size:           8
        .value_kind:     global_buffer
      - .actual_access:  read_only
        .address_space:  global
        .offset:         48
        .size:           8
        .value_kind:     global_buffer
      - .offset:         56
        .size:           4
        .value_kind:     by_value
      - .actual_access:  read_only
        .address_space:  global
        .offset:         64
        .size:           8
        .value_kind:     global_buffer
      - .actual_access:  read_only
        .address_space:  global
        .offset:         72
        .size:           8
        .value_kind:     global_buffer
      - .address_space:  global
        .offset:         80
        .size:           8
        .value_kind:     global_buffer
    .group_segment_fixed_size: 0
    .kernarg_segment_align: 8
    .kernarg_segment_size: 88
    .language:       OpenCL C
    .language_version:
      - 2
      - 0
    .max_flat_workgroup_size: 63
    .name:           fft_rtc_fwd_len1701_factors_3_3_3_3_3_7_wgs_63_tpt_63_halfLds_sp_ip_CI_sbrr_dirReg
    .private_segment_fixed_size: 0
    .sgpr_count:     28
    .sgpr_spill_count: 0
    .symbol:         fft_rtc_fwd_len1701_factors_3_3_3_3_3_7_wgs_63_tpt_63_halfLds_sp_ip_CI_sbrr_dirReg.kd
    .uniform_work_group_size: 1
    .uses_dynamic_stack: false
    .vgpr_count:     125
    .vgpr_spill_count: 0
    .wavefront_size: 64
amdhsa.target:   amdgcn-amd-amdhsa--gfx906
amdhsa.version:
  - 1
  - 2
...

	.end_amdgpu_metadata
